;; amdgpu-corpus repo=ROCm/rocFFT kind=compiled arch=gfx906 opt=O3
	.text
	.amdgcn_target "amdgcn-amd-amdhsa--gfx906"
	.amdhsa_code_object_version 6
	.protected	fft_rtc_fwd_len510_factors_17_2_3_5_wgs_238_tpt_34_halfLds_sp_op_CI_CI_unitstride_sbrr_dirReg ; -- Begin function fft_rtc_fwd_len510_factors_17_2_3_5_wgs_238_tpt_34_halfLds_sp_op_CI_CI_unitstride_sbrr_dirReg
	.globl	fft_rtc_fwd_len510_factors_17_2_3_5_wgs_238_tpt_34_halfLds_sp_op_CI_CI_unitstride_sbrr_dirReg
	.p2align	8
	.type	fft_rtc_fwd_len510_factors_17_2_3_5_wgs_238_tpt_34_halfLds_sp_op_CI_CI_unitstride_sbrr_dirReg,@function
fft_rtc_fwd_len510_factors_17_2_3_5_wgs_238_tpt_34_halfLds_sp_op_CI_CI_unitstride_sbrr_dirReg: ; @fft_rtc_fwd_len510_factors_17_2_3_5_wgs_238_tpt_34_halfLds_sp_op_CI_CI_unitstride_sbrr_dirReg
; %bb.0:
	v_mul_u32_u24_e32 v1, 0x788, v0
	s_load_dwordx4 s[8:11], s[4:5], 0x58
	s_load_dwordx4 s[12:15], s[4:5], 0x0
	;; [unrolled: 1-line block ×3, first 2 shown]
	v_lshrrev_b32_e32 v1, 16, v1
	v_mad_u64_u32 v[7:8], s[0:1], s6, 7, v[1:2]
	v_mov_b32_e32 v3, 0
	s_waitcnt lgkmcnt(0)
	v_cmp_lt_u64_e64 s[0:1], s[14:15], 2
	v_mov_b32_e32 v43, 0
	v_mov_b32_e32 v8, v3
	;; [unrolled: 1-line block ×5, first 2 shown]
	s_and_b64 vcc, exec, s[0:1]
	v_mov_b32_e32 v2, v44
	v_mov_b32_e32 v6, v8
	s_cbranch_vccnz .LBB0_8
; %bb.1:
	s_load_dwordx2 s[0:1], s[4:5], 0x10
	s_add_u32 s2, s18, 8
	s_addc_u32 s3, s19, 0
	s_add_u32 s6, s16, 8
	s_addc_u32 s7, s17, 0
	v_mov_b32_e32 v43, 0
	s_waitcnt lgkmcnt(0)
	s_add_u32 s20, s0, 8
	v_mov_b32_e32 v44, 0
	v_mov_b32_e32 v1, v43
	;; [unrolled: 1-line block ×3, first 2 shown]
	s_addc_u32 s21, s1, 0
	s_mov_b64 s[22:23], 1
	v_mov_b32_e32 v2, v44
	v_mov_b32_e32 v8, v7
.LBB0_2:                                ; =>This Inner Loop Header: Depth=1
	s_load_dwordx2 s[24:25], s[20:21], 0x0
                                        ; implicit-def: $vgpr5_vgpr6
	s_waitcnt lgkmcnt(0)
	v_or_b32_e32 v4, s25, v9
	v_cmp_ne_u64_e32 vcc, 0, v[3:4]
	s_and_saveexec_b64 s[0:1], vcc
	s_xor_b64 s[26:27], exec, s[0:1]
	s_cbranch_execz .LBB0_4
; %bb.3:                                ;   in Loop: Header=BB0_2 Depth=1
	v_cvt_f32_u32_e32 v4, s24
	v_cvt_f32_u32_e32 v5, s25
	s_sub_u32 s0, 0, s24
	s_subb_u32 s1, 0, s25
	v_mac_f32_e32 v4, 0x4f800000, v5
	v_rcp_f32_e32 v4, v4
	v_mul_f32_e32 v4, 0x5f7ffffc, v4
	v_mul_f32_e32 v5, 0x2f800000, v4
	v_trunc_f32_e32 v5, v5
	v_mac_f32_e32 v4, 0xcf800000, v5
	v_cvt_u32_f32_e32 v5, v5
	v_cvt_u32_f32_e32 v4, v4
	v_mul_lo_u32 v6, s0, v5
	v_mul_hi_u32 v10, s0, v4
	v_mul_lo_u32 v12, s1, v4
	v_mul_lo_u32 v11, s0, v4
	v_add_u32_e32 v6, v10, v6
	v_add_u32_e32 v6, v6, v12
	v_mul_hi_u32 v10, v4, v11
	v_mul_lo_u32 v12, v4, v6
	v_mul_hi_u32 v14, v4, v6
	v_mul_hi_u32 v13, v5, v11
	v_mul_lo_u32 v11, v5, v11
	v_mul_hi_u32 v15, v5, v6
	v_add_co_u32_e32 v10, vcc, v10, v12
	v_addc_co_u32_e32 v12, vcc, 0, v14, vcc
	v_mul_lo_u32 v6, v5, v6
	v_add_co_u32_e32 v10, vcc, v10, v11
	v_addc_co_u32_e32 v10, vcc, v12, v13, vcc
	v_addc_co_u32_e32 v11, vcc, 0, v15, vcc
	v_add_co_u32_e32 v6, vcc, v10, v6
	v_addc_co_u32_e32 v10, vcc, 0, v11, vcc
	v_add_co_u32_e32 v4, vcc, v4, v6
	v_addc_co_u32_e32 v5, vcc, v5, v10, vcc
	v_mul_lo_u32 v6, s0, v5
	v_mul_hi_u32 v10, s0, v4
	v_mul_lo_u32 v11, s1, v4
	v_mul_lo_u32 v12, s0, v4
	v_add_u32_e32 v6, v10, v6
	v_add_u32_e32 v6, v6, v11
	v_mul_lo_u32 v13, v4, v6
	v_mul_hi_u32 v14, v4, v12
	v_mul_hi_u32 v15, v4, v6
	;; [unrolled: 1-line block ×3, first 2 shown]
	v_mul_lo_u32 v12, v5, v12
	v_mul_hi_u32 v10, v5, v6
	v_add_co_u32_e32 v13, vcc, v14, v13
	v_addc_co_u32_e32 v14, vcc, 0, v15, vcc
	v_mul_lo_u32 v6, v5, v6
	v_add_co_u32_e32 v12, vcc, v13, v12
	v_addc_co_u32_e32 v11, vcc, v14, v11, vcc
	v_addc_co_u32_e32 v10, vcc, 0, v10, vcc
	v_add_co_u32_e32 v6, vcc, v11, v6
	v_addc_co_u32_e32 v10, vcc, 0, v10, vcc
	v_add_co_u32_e32 v6, vcc, v4, v6
	v_addc_co_u32_e32 v10, vcc, v5, v10, vcc
	v_mad_u64_u32 v[4:5], s[0:1], v8, v10, 0
	v_mul_hi_u32 v11, v8, v6
	v_add_co_u32_e32 v12, vcc, v11, v4
	v_addc_co_u32_e32 v13, vcc, 0, v5, vcc
	v_mad_u64_u32 v[4:5], s[0:1], v9, v6, 0
	v_mad_u64_u32 v[10:11], s[0:1], v9, v10, 0
	v_add_co_u32_e32 v4, vcc, v12, v4
	v_addc_co_u32_e32 v4, vcc, v13, v5, vcc
	v_addc_co_u32_e32 v5, vcc, 0, v11, vcc
	v_add_co_u32_e32 v10, vcc, v4, v10
	v_addc_co_u32_e32 v6, vcc, 0, v5, vcc
	v_mul_lo_u32 v11, s25, v10
	v_mul_lo_u32 v12, s24, v6
	v_mad_u64_u32 v[4:5], s[0:1], s24, v10, 0
	v_add3_u32 v5, v5, v12, v11
	v_sub_u32_e32 v11, v9, v5
	v_mov_b32_e32 v12, s25
	v_sub_co_u32_e32 v4, vcc, v8, v4
	v_subb_co_u32_e64 v11, s[0:1], v11, v12, vcc
	v_subrev_co_u32_e64 v12, s[0:1], s24, v4
	v_subbrev_co_u32_e64 v11, s[0:1], 0, v11, s[0:1]
	v_cmp_le_u32_e64 s[0:1], s25, v11
	v_cndmask_b32_e64 v13, 0, -1, s[0:1]
	v_cmp_le_u32_e64 s[0:1], s24, v12
	v_cndmask_b32_e64 v12, 0, -1, s[0:1]
	v_cmp_eq_u32_e64 s[0:1], s25, v11
	v_cndmask_b32_e64 v11, v13, v12, s[0:1]
	v_add_co_u32_e64 v12, s[0:1], 2, v10
	v_addc_co_u32_e64 v13, s[0:1], 0, v6, s[0:1]
	v_add_co_u32_e64 v14, s[0:1], 1, v10
	v_addc_co_u32_e64 v15, s[0:1], 0, v6, s[0:1]
	v_subb_co_u32_e32 v5, vcc, v9, v5, vcc
	v_cmp_ne_u32_e64 s[0:1], 0, v11
	v_cmp_le_u32_e32 vcc, s25, v5
	v_cndmask_b32_e64 v11, v15, v13, s[0:1]
	v_cndmask_b32_e64 v13, 0, -1, vcc
	v_cmp_le_u32_e32 vcc, s24, v4
	v_cndmask_b32_e64 v4, 0, -1, vcc
	v_cmp_eq_u32_e32 vcc, s25, v5
	v_cndmask_b32_e32 v4, v13, v4, vcc
	v_cmp_ne_u32_e32 vcc, 0, v4
	v_cndmask_b32_e64 v4, v14, v12, s[0:1]
	v_cndmask_b32_e32 v6, v6, v11, vcc
	v_cndmask_b32_e32 v5, v10, v4, vcc
.LBB0_4:                                ;   in Loop: Header=BB0_2 Depth=1
	s_andn2_saveexec_b64 s[0:1], s[26:27]
	s_cbranch_execz .LBB0_6
; %bb.5:                                ;   in Loop: Header=BB0_2 Depth=1
	v_cvt_f32_u32_e32 v4, s24
	s_sub_i32 s26, 0, s24
	v_rcp_iflag_f32_e32 v4, v4
	v_mul_f32_e32 v4, 0x4f7ffffe, v4
	v_cvt_u32_f32_e32 v4, v4
	v_mul_lo_u32 v5, s26, v4
	v_mul_hi_u32 v5, v4, v5
	v_add_u32_e32 v4, v4, v5
	v_mul_hi_u32 v4, v8, v4
	v_mul_lo_u32 v5, v4, s24
	v_add_u32_e32 v6, 1, v4
	v_sub_u32_e32 v5, v8, v5
	v_subrev_u32_e32 v10, s24, v5
	v_cmp_le_u32_e32 vcc, s24, v5
	v_cndmask_b32_e32 v5, v5, v10, vcc
	v_cndmask_b32_e32 v4, v4, v6, vcc
	v_add_u32_e32 v6, 1, v4
	v_cmp_le_u32_e32 vcc, s24, v5
	v_cndmask_b32_e32 v5, v4, v6, vcc
	v_mov_b32_e32 v6, v3
.LBB0_6:                                ;   in Loop: Header=BB0_2 Depth=1
	s_or_b64 exec, exec, s[0:1]
	v_mul_lo_u32 v4, v6, s24
	v_mul_lo_u32 v12, v5, s25
	v_mad_u64_u32 v[10:11], s[0:1], v5, s24, 0
	s_load_dwordx2 s[0:1], s[6:7], 0x0
	s_load_dwordx2 s[24:25], s[2:3], 0x0
	v_add3_u32 v4, v11, v12, v4
	v_sub_co_u32_e32 v8, vcc, v8, v10
	v_subb_co_u32_e32 v4, vcc, v9, v4, vcc
	s_waitcnt lgkmcnt(0)
	v_mul_lo_u32 v9, s0, v4
	v_mul_lo_u32 v10, s1, v8
	v_mad_u64_u32 v[43:44], s[0:1], s0, v8, v[43:44]
	s_add_u32 s22, s22, 1
	s_addc_u32 s23, s23, 0
	s_add_u32 s2, s2, 8
	v_mul_lo_u32 v4, s24, v4
	v_mul_lo_u32 v11, s25, v8
	v_mad_u64_u32 v[1:2], s[0:1], s24, v8, v[1:2]
	v_add3_u32 v44, v10, v44, v9
	s_addc_u32 s3, s3, 0
	v_mov_b32_e32 v8, s14
	s_add_u32 s6, s6, 8
	v_mov_b32_e32 v9, s15
	s_addc_u32 s7, s7, 0
	v_cmp_ge_u64_e32 vcc, s[22:23], v[8:9]
	s_add_u32 s20, s20, 8
	v_add3_u32 v2, v11, v2, v4
	s_addc_u32 s21, s21, 0
	s_cbranch_vccnz .LBB0_8
; %bb.7:                                ;   in Loop: Header=BB0_2 Depth=1
	v_mov_b32_e32 v9, v6
	v_mov_b32_e32 v8, v5
	s_branch .LBB0_2
.LBB0_8:
	s_load_dwordx2 s[0:1], s[4:5], 0x28
	s_mov_b32 s4, 0x7878788
	v_mul_hi_u32 v3, v0, s4
	s_lshl_b64 s[2:3], s[14:15], 3
	s_add_u32 s4, s18, s2
	s_waitcnt lgkmcnt(0)
	v_cmp_gt_u64_e32 vcc, s[0:1], v[5:6]
	v_mul_u32_u24_e32 v3, 34, v3
	v_sub_u32_e32 v3, v0, v3
	v_cmp_gt_u32_e64 s[0:1], 30, v3
	s_addc_u32 s5, s19, s3
	s_and_b64 s[14:15], vcc, s[0:1]
	v_mov_b32_e32 v10, 0
	v_mov_b32_e32 v9, 0
                                        ; implicit-def: $vgpr12
                                        ; implicit-def: $vgpr14
                                        ; implicit-def: $vgpr16
                                        ; implicit-def: $vgpr18
                                        ; implicit-def: $vgpr20
                                        ; implicit-def: $vgpr22
                                        ; implicit-def: $vgpr24
                                        ; implicit-def: $vgpr26
                                        ; implicit-def: $vgpr28
                                        ; implicit-def: $vgpr30
                                        ; implicit-def: $vgpr34
                                        ; implicit-def: $vgpr42
                                        ; implicit-def: $vgpr40
                                        ; implicit-def: $vgpr38
                                        ; implicit-def: $vgpr36
                                        ; implicit-def: $vgpr32
	s_and_saveexec_b64 s[6:7], s[14:15]
	s_cbranch_execz .LBB0_10
; %bb.9:
	s_add_u32 s2, s16, s2
	s_addc_u32 s3, s17, s3
	s_load_dwordx2 s[2:3], s[2:3], 0x0
	v_mov_b32_e32 v11, s9
	v_mov_b32_e32 v4, 0
	s_waitcnt lgkmcnt(0)
	v_mul_lo_u32 v0, s3, v5
	v_mul_lo_u32 v10, s2, v6
	v_mad_u64_u32 v[8:9], s[2:3], s2, v5, 0
	v_add3_u32 v9, v9, v10, v0
	v_lshlrev_b64 v[8:9], 3, v[8:9]
	v_add_co_u32_e64 v0, s[2:3], s8, v8
	v_addc_co_u32_e64 v10, s[2:3], v11, v9, s[2:3]
	v_lshlrev_b64 v[8:9], 3, v[43:44]
	v_add_co_u32_e64 v0, s[2:3], v0, v8
	v_addc_co_u32_e64 v10, s[2:3], v10, v9, s[2:3]
	;; [unrolled: 3-line block ×3, first 2 shown]
	global_load_dwordx2 v[9:10], v[43:44], off
	global_load_dwordx2 v[11:12], v[43:44], off offset:240
	global_load_dwordx2 v[13:14], v[43:44], off offset:480
	;; [unrolled: 1-line block ×16, first 2 shown]
.LBB0_10:
	s_or_b64 exec, exec, s[6:7]
	s_mov_b32 s2, 0x24924925
	v_mul_hi_u32 v4, v7, s2
	s_waitcnt vmcnt(0)
	v_add_f32_e32 v0, v11, v41
	v_mul_f32_e32 v50, 0x3f3d2fb0, v0
	v_sub_f32_e32 v44, v12, v42
	v_sub_u32_e32 v8, v7, v4
	v_lshrrev_b32_e32 v8, 1, v8
	v_add_u32_e32 v4, v8, v4
	v_lshrrev_b32_e32 v4, 2, v4
	v_mul_lo_u32 v4, v4, 7
	v_mov_b32_e32 v8, v50
	v_fmac_f32_e32 v8, 0xbf2c7751, v44
	v_sub_f32_e32 v46, v14, v40
	v_sub_u32_e32 v57, v7, v4
	v_add_f32_e32 v4, v13, v39
	v_mul_f32_e32 v55, 0x3dbcf732, v4
	v_mov_b32_e32 v7, v55
	v_add_f32_e32 v8, v9, v8
	v_mul_f32_e32 v63, 0x3ee437d1, v0
	v_fmac_f32_e32 v7, 0xbf7ee86f, v46
	v_add_f32_e32 v7, v8, v7
	v_mov_b32_e32 v8, v63
	v_mul_f32_e32 v65, 0xbf1a4643, v4
	v_fmac_f32_e32 v8, 0xbf65296c, v44
	v_mov_b32_e32 v43, v65
	v_add_f32_e32 v8, v9, v8
	v_fmac_f32_e32 v43, 0xbf4c4adb, v46
	v_add_f32_e32 v8, v8, v43
	v_add_f32_e32 v43, v15, v33
	v_mul_f32_e32 v58, 0xbf1a4643, v43
	v_sub_f32_e32 v49, v16, v34
	v_mov_b32_e32 v45, v58
	v_fmac_f32_e32 v45, 0xbf4c4adb, v49
	v_mul_f32_e32 v67, 0xbf7ba420, v43
	v_add_f32_e32 v7, v45, v7
	v_mov_b32_e32 v45, v67
	v_fmac_f32_e32 v45, 0x3e3c28d5, v49
	v_add_f32_e32 v8, v45, v8
	v_add_f32_e32 v45, v17, v37
	v_mul_f32_e32 v60, 0xbf7ba420, v45
	v_sub_f32_e32 v51, v18, v38
	v_mov_b32_e32 v47, v60
	v_fmac_f32_e32 v47, 0xbe3c28d5, v51
	v_mul_f32_e32 v69, 0xbe8c1d8e, v45
	v_add_f32_e32 v7, v7, v47
	v_mov_b32_e32 v47, v69
	;; [unrolled: 10-line block ×6, first 2 shown]
	v_fmac_f32_e32 v7, 0xbf06c442, v61
	v_mul_u32_u24_e32 v57, 0x1fe, v57
	v_add_f32_e32 v7, v74, v7
	s_mov_b32 s16, 0x3f3d2fb0
	s_mov_b32 s14, 0x3ee437d1
	s_mov_b32 s9, 0x3dbcf732
	s_mov_b32 s7, 0xbf1a4643
	s_mov_b32 s6, 0xbf7ba420
	s_mov_b32 s15, 0xbe8c1d8e
	s_mov_b32 s8, 0xbf59a7d5
	s_mov_b32 s17, 0x3f6eb680
	v_lshlrev_b32_e32 v57, 2, v57
	s_and_saveexec_b64 s[2:3], s[0:1]
	s_cbranch_execz .LBB0_12
; %bb.11:
	v_mul_f32_e32 v74, 0xbe3c28d5, v44
	v_mov_b32_e32 v75, v74
	v_mul_f32_e32 v76, 0x3eb8f4ab, v46
	v_fmac_f32_e32 v75, 0xbf7ba420, v0
	v_mov_b32_e32 v77, v76
	v_add_f32_e32 v75, v9, v75
	v_fmac_f32_e32 v77, 0x3f6eb680, v4
	v_add_f32_e32 v75, v75, v77
	v_mul_f32_e32 v77, 0xbf06c442, v49
	v_mov_b32_e32 v78, v77
	v_fmac_f32_e32 v78, 0xbf59a7d5, v43
	v_add_f32_e32 v75, v78, v75
	v_mul_f32_e32 v78, 0x3f2c7751, v51
	v_mov_b32_e32 v79, v78
	;; [unrolled: 4-line block ×3, first 2 shown]
	v_fmac_f32_e32 v80, 0xbf1a4643, v47
	v_add_f32_e32 v75, v80, v75
	v_mul_f32_e32 v80, 0x3f65296c, v56
	v_fma_f32 v74, v0, s6, -v74
	v_mov_b32_e32 v81, v80
	v_add_f32_e32 v74, v9, v74
	v_fma_f32 v76, v4, s17, -v76
	v_fmac_f32_e32 v81, 0x3ee437d1, v48
	v_add_f32_e32 v74, v74, v76
	v_fma_f32 v76, v43, s8, -v77
	v_add_f32_e32 v75, v75, v81
	v_mul_f32_e32 v81, 0xbf763a35, v59
	v_add_f32_e32 v74, v76, v74
	v_fma_f32 v76, v45, s16, -v78
	v_mov_b32_e32 v82, v81
	v_add_f32_e32 v74, v74, v76
	v_fma_f32 v76, v47, s7, -v79
	v_fmac_f32_e32 v82, 0xbe8c1d8e, v52
	v_add_f32_e32 v74, v76, v74
	v_fma_f32 v76, v48, s14, -v80
	v_add_f32_e32 v75, v82, v75
	v_mul_f32_e32 v82, 0x3f7ee86f, v61
	v_add_f32_e32 v74, v74, v76
	v_fma_f32 v76, v52, s15, -v81
	v_add_f32_e32 v74, v76, v74
	v_fma_f32 v76, v54, s9, -v82
	v_add_f32_e32 v74, v74, v76
	v_mul_f32_e32 v76, 0xbf06c442, v44
	v_mov_b32_e32 v77, v76
	v_mul_f32_e32 v78, 0x3f65296c, v46
	v_fmac_f32_e32 v77, 0xbf59a7d5, v0
	v_mov_b32_e32 v79, v78
	v_add_f32_e32 v77, v9, v77
	v_fmac_f32_e32 v79, 0x3ee437d1, v4
	v_add_f32_e32 v77, v77, v79
	v_mul_f32_e32 v79, 0xbf7ee86f, v49
	v_mov_b32_e32 v80, v79
	v_fmac_f32_e32 v80, 0x3dbcf732, v43
	v_add_f32_e32 v77, v80, v77
	v_mul_f32_e32 v80, 0x3f4c4adb, v51
	v_mov_b32_e32 v81, v80
	v_fmac_f32_e32 v81, 0xbf1a4643, v45
	v_add_f32_e32 v77, v77, v81
	v_mul_f32_e32 v81, 0xbeb8f4ab, v53
	v_mov_b32_e32 v83, v82
	v_mov_b32_e32 v82, v81
	v_fmac_f32_e32 v82, 0x3f6eb680, v47
	v_fmac_f32_e32 v83, 0x3dbcf732, v54
	v_add_f32_e32 v77, v82, v77
	v_mul_f32_e32 v82, 0xbe3c28d5, v56
	v_fma_f32 v76, v0, s8, -v76
	v_add_f32_e32 v75, v75, v83
	v_mov_b32_e32 v83, v82
	v_add_f32_e32 v76, v9, v76
	v_fma_f32 v78, v4, s14, -v78
	v_fmac_f32_e32 v83, 0xbf7ba420, v48
	v_add_f32_e32 v76, v76, v78
	v_fma_f32 v78, v43, s9, -v79
	v_add_f32_e32 v77, v77, v83
	v_mul_f32_e32 v83, 0x3f2c7751, v59
	v_add_f32_e32 v76, v78, v76
	v_fma_f32 v78, v45, s7, -v80
	v_mov_b32_e32 v84, v83
	v_add_f32_e32 v76, v76, v78
	v_fma_f32 v78, v47, s17, -v81
	v_fmac_f32_e32 v84, 0x3f3d2fb0, v52
	v_add_f32_e32 v76, v78, v76
	v_fma_f32 v78, v48, s6, -v82
	v_add_f32_e32 v77, v84, v77
	v_mul_f32_e32 v84, 0xbf763a35, v61
	v_add_f32_e32 v76, v76, v78
	v_fma_f32 v78, v52, s16, -v83
	v_add_f32_e32 v76, v78, v76
	v_fma_f32 v78, v54, s15, -v84
	v_add_f32_e32 v76, v76, v78
	v_mul_f32_e32 v78, 0xbf4c4adb, v44
	v_mov_b32_e32 v79, v78
	v_mul_f32_e32 v80, 0x3f763a35, v46
	v_fmac_f32_e32 v79, 0xbf1a4643, v0
	v_mov_b32_e32 v81, v80
	v_add_f32_e32 v79, v9, v79
	v_fmac_f32_e32 v81, 0xbe8c1d8e, v4
	v_add_f32_e32 v79, v79, v81
	v_mul_f32_e32 v81, 0xbeb8f4ab, v49
	v_mov_b32_e32 v82, v81
	v_fmac_f32_e32 v82, 0x3f6eb680, v43
	v_add_f32_e32 v79, v82, v79
	v_mul_f32_e32 v82, 0xbf06c442, v51
	v_mov_b32_e32 v83, v82
	v_fmac_f32_e32 v83, 0xbf59a7d5, v45
	v_add_f32_e32 v79, v79, v83
	v_mul_f32_e32 v83, 0x3f7ee86f, v53
	v_mov_b32_e32 v85, v84
	v_mov_b32_e32 v84, v83
	v_fmac_f32_e32 v84, 0x3dbcf732, v47
	v_fmac_f32_e32 v85, 0xbe8c1d8e, v54
	v_add_f32_e32 v79, v84, v79
	v_mul_f32_e32 v84, 0xbf2c7751, v56
	v_fma_f32 v78, v0, s7, -v78
	v_add_f32_e32 v77, v77, v85
	v_mov_b32_e32 v85, v84
	v_add_f32_e32 v78, v9, v78
	v_fma_f32 v80, v4, s15, -v80
	v_fmac_f32_e32 v85, 0x3f3d2fb0, v48
	v_add_f32_e32 v78, v78, v80
	v_fma_f32 v80, v43, s17, -v81
	v_add_f32_e32 v79, v79, v85
	v_mul_f32_e32 v85, 0xbe3c28d5, v59
	v_add_f32_e32 v78, v80, v78
	v_fma_f32 v80, v45, s8, -v82
	v_mov_b32_e32 v86, v85
	v_add_f32_e32 v78, v78, v80
	v_fma_f32 v80, v47, s9, -v83
	v_fmac_f32_e32 v86, 0xbf7ba420, v52
	v_add_f32_e32 v78, v80, v78
	v_fma_f32 v80, v48, s16, -v84
	v_add_f32_e32 v79, v86, v79
	v_mul_f32_e32 v86, 0x3f65296c, v61
	v_add_f32_e32 v78, v78, v80
	v_fma_f32 v80, v52, s6, -v85
	v_add_f32_e32 v78, v80, v78
	v_fma_f32 v80, v54, s14, -v86
	v_add_f32_e32 v78, v78, v80
	v_mul_f32_e32 v80, 0xbf763a35, v44
	v_mov_b32_e32 v81, v80
	v_mul_f32_e32 v82, 0x3f06c442, v46
	v_fmac_f32_e32 v81, 0xbe8c1d8e, v0
	v_mov_b32_e32 v83, v82
	v_add_f32_e32 v81, v9, v81
	v_fmac_f32_e32 v83, 0xbf59a7d5, v4
	v_add_f32_e32 v81, v81, v83
	v_mul_f32_e32 v83, 0x3f2c7751, v49
	v_mov_b32_e32 v84, v83
	v_fmac_f32_e32 v84, 0x3f3d2fb0, v43
	v_add_f32_e32 v81, v84, v81
	v_mul_f32_e32 v84, 0xbf65296c, v51
	v_mov_b32_e32 v85, v84
	v_fmac_f32_e32 v85, 0x3ee437d1, v45
	v_add_f32_e32 v81, v81, v85
	v_mul_f32_e32 v85, 0xbe3c28d5, v53
	v_mov_b32_e32 v87, v86
	v_mov_b32_e32 v86, v85
	v_fmac_f32_e32 v86, 0xbf7ba420, v47
	v_fmac_f32_e32 v87, 0x3ee437d1, v54
	v_add_f32_e32 v81, v86, v81
	v_mul_f32_e32 v86, 0x3f7ee86f, v56
	v_fma_f32 v80, v0, s15, -v80
	v_add_f32_e32 v79, v79, v87
	v_mov_b32_e32 v87, v86
	v_add_f32_e32 v80, v9, v80
	v_fma_f32 v82, v4, s8, -v82
	v_fmac_f32_e32 v87, 0x3dbcf732, v48
	v_add_f32_e32 v80, v80, v82
	v_fma_f32 v82, v43, s16, -v83
	v_add_f32_e32 v81, v81, v87
	v_mul_f32_e32 v87, 0xbeb8f4ab, v59
	v_add_f32_e32 v80, v82, v80
	v_fma_f32 v82, v45, s14, -v84
	v_mov_b32_e32 v88, v87
	v_add_f32_e32 v80, v80, v82
	v_fma_f32 v82, v47, s6, -v85
	v_fmac_f32_e32 v88, 0x3f6eb680, v52
	v_add_f32_e32 v80, v82, v80
	v_fma_f32 v82, v48, s9, -v86
	v_add_f32_e32 v81, v88, v81
	v_mul_f32_e32 v88, 0xbf4c4adb, v61
	v_add_f32_e32 v80, v80, v82
	v_fma_f32 v82, v52, s17, -v87
	v_add_f32_e32 v80, v82, v80
	v_fma_f32 v82, v54, s7, -v88
	v_add_f32_e32 v80, v80, v82
	v_mul_f32_e32 v82, 0xbf7ee86f, v44
	v_mov_b32_e32 v83, v82
	v_mul_f32_e32 v84, 0xbe3c28d5, v46
	v_fmac_f32_e32 v83, 0x3dbcf732, v0
	v_mov_b32_e32 v85, v84
	v_add_f32_e32 v83, v9, v83
	v_fmac_f32_e32 v85, 0xbf7ba420, v4
	v_add_f32_e32 v83, v83, v85
	v_mul_f32_e32 v85, 0x3f763a35, v49
	v_mov_b32_e32 v86, v85
	v_fmac_f32_e32 v86, 0xbe8c1d8e, v43
	v_add_f32_e32 v83, v86, v83
	v_mul_f32_e32 v86, 0x3eb8f4ab, v51
	v_mov_b32_e32 v87, v86
	v_fmac_f32_e32 v87, 0x3f6eb680, v45
	v_add_f32_e32 v83, v83, v87
	v_mul_f32_e32 v87, 0xbf65296c, v53
	v_mov_b32_e32 v89, v88
	v_mov_b32_e32 v88, v87
	v_fmac_f32_e32 v88, 0x3ee437d1, v47
	v_fmac_f32_e32 v89, 0xbf1a4643, v54
	v_add_f32_e32 v83, v88, v83
	v_mul_f32_e32 v88, 0xbf06c442, v56
	v_fma_f32 v82, v0, s9, -v82
	v_add_f32_e32 v81, v81, v89
	v_mov_b32_e32 v89, v88
	v_add_f32_e32 v82, v9, v82
	v_fma_f32 v84, v4, s6, -v84
	v_fmac_f32_e32 v89, 0xbf59a7d5, v48
	v_add_f32_e32 v82, v82, v84
	v_fma_f32 v84, v43, s15, -v85
	v_add_f32_e32 v83, v83, v89
	v_mul_f32_e32 v89, 0x3f4c4adb, v59
	v_add_f32_e32 v82, v84, v82
	v_fma_f32 v84, v45, s17, -v86
	v_mov_b32_e32 v90, v89
	v_add_f32_e32 v82, v82, v84
	v_fma_f32 v84, v47, s14, -v87
	v_fmac_f32_e32 v90, 0xbf1a4643, v52
	v_add_f32_e32 v82, v84, v82
	v_fma_f32 v84, v48, s8, -v88
	v_add_f32_e32 v83, v90, v83
	v_mul_f32_e32 v90, 0x3f2c7751, v61
	v_add_f32_e32 v82, v82, v84
	v_fma_f32 v84, v52, s7, -v89
	v_add_f32_e32 v82, v84, v82
	v_fma_f32 v84, v54, s16, -v90
	v_add_f32_e32 v82, v82, v84
	v_mul_f32_e32 v84, 0xbf65296c, v44
	v_sub_f32_e32 v63, v63, v84
	v_mul_f32_e32 v84, 0xbf4c4adb, v46
	v_sub_f32_e32 v65, v65, v84
	v_add_f32_e32 v63, v9, v63
	v_add_f32_e32 v63, v63, v65
	v_mul_f32_e32 v65, 0x3e3c28d5, v49
	v_sub_f32_e32 v65, v67, v65
	v_add_f32_e32 v63, v65, v63
	v_mul_f32_e32 v65, 0x3f763a35, v51
	v_sub_f32_e32 v65, v69, v65
	;; [unrolled: 3-line block ×7, first 2 shown]
	v_mul_f32_e32 v65, 0xbf7ee86f, v46
	v_sub_f32_e32 v55, v55, v65
	v_add_f32_e32 v50, v9, v50
	v_add_f32_e32 v50, v50, v55
	v_mul_f32_e32 v55, 0xbf4c4adb, v49
	v_sub_f32_e32 v55, v58, v55
	v_add_f32_e32 v50, v55, v50
	v_mul_f32_e32 v55, 0xbe3c28d5, v51
	v_sub_f32_e32 v55, v60, v55
	v_mul_f32_e32 v58, 0x3f06c442, v53
	v_add_f32_e32 v50, v50, v55
	v_mul_f32_e32 v55, 0x3f763a35, v56
	v_sub_f32_e32 v58, v62, v58
	v_mul_f32_e32 v60, 0x3f65296c, v59
	v_add_f32_e32 v50, v58, v50
	v_sub_f32_e32 v55, v64, v55
	v_mul_f32_e32 v58, 0x3eb8f4ab, v61
	v_add_f32_e32 v50, v50, v55
	v_sub_f32_e32 v55, v66, v60
	v_add_f32_e32 v50, v55, v50
	v_sub_f32_e32 v55, v68, v58
	v_mul_f32_e32 v44, 0xbeb8f4ab, v44
	v_add_f32_e32 v50, v50, v55
	v_mov_b32_e32 v55, v44
	v_mul_f32_e32 v46, 0xbf2c7751, v46
	v_fmac_f32_e32 v55, 0x3f6eb680, v0
	v_mov_b32_e32 v58, v46
	v_add_f32_e32 v55, v9, v55
	v_fmac_f32_e32 v58, 0x3f3d2fb0, v4
	v_mul_f32_e32 v49, 0xbf65296c, v49
	v_add_f32_e32 v55, v55, v58
	v_mov_b32_e32 v58, v49
	v_fmac_f32_e32 v58, 0x3ee437d1, v43
	v_mul_f32_e32 v51, 0xbf7ee86f, v51
	v_add_f32_e32 v55, v58, v55
	v_mov_b32_e32 v58, v51
	v_fmac_f32_e32 v58, 0x3dbcf732, v45
	v_mul_f32_e32 v53, 0xbf763a35, v53
	v_add_f32_e32 v55, v55, v58
	v_mov_b32_e32 v58, v53
	v_fmac_f32_e32 v58, 0xbe8c1d8e, v47
	v_mul_f32_e32 v56, 0xbf4c4adb, v56
	v_fma_f32 v0, v0, s17, -v44
	v_add_f32_e32 v55, v58, v55
	v_mov_b32_e32 v58, v56
	v_add_f32_e32 v0, v9, v0
	v_fma_f32 v4, v4, s16, -v46
	v_fmac_f32_e32 v58, 0xbf1a4643, v48
	v_add_f32_e32 v0, v0, v4
	v_fma_f32 v4, v43, s14, -v49
	v_add_f32_e32 v55, v55, v58
	v_mul_f32_e32 v58, 0xbf06c442, v59
	v_add_f32_e32 v0, v4, v0
	v_fma_f32 v4, v45, s9, -v51
	v_mov_b32_e32 v59, v58
	v_add_f32_e32 v0, v0, v4
	v_fma_f32 v4, v47, s15, -v53
	v_fmac_f32_e32 v59, 0xbf59a7d5, v52
	v_add_f32_e32 v0, v4, v0
	v_fma_f32 v4, v48, s7, -v56
	v_add_f32_e32 v55, v59, v55
	v_mul_f32_e32 v59, 0xbe3c28d5, v61
	v_add_f32_e32 v0, v0, v4
	v_fma_f32 v4, v52, s8, -v58
	v_add_f32_e32 v0, v4, v0
	v_fma_f32 v4, v54, s6, -v59
	v_add_f32_e32 v0, v0, v4
	v_add_f32_e32 v4, v9, v11
	;; [unrolled: 1-line block ×15, first 2 shown]
	v_mov_b32_e32 v91, v90
	v_mov_b32_e32 v60, v59
	v_add_f32_e32 v4, v39, v4
	v_mul_u32_u24_e32 v9, 0x44, v3
	v_fmac_f32_e32 v91, 0x3f3d2fb0, v54
	v_fmac_f32_e32 v60, 0xbf7ba420, v54
	v_add_f32_e32 v4, v41, v4
	v_add3_u32 v9, 0, v9, v57
	v_add_f32_e32 v83, v83, v91
	v_add_f32_e32 v55, v55, v60
	ds_write2_b32 v9, v4, v0 offset1:1
	ds_write2_b32 v9, v50, v63 offset0:2 offset1:3
	ds_write2_b32 v9, v82, v80 offset0:4 offset1:5
	;; [unrolled: 1-line block ×7, first 2 shown]
	ds_write_b32 v9, v55 offset:64
.LBB0_12:
	s_or_b64 exec, exec, s[2:3]
	v_lshlrev_b32_e32 v4, 2, v3
	v_add_u32_e32 v9, 0, v4
	v_add_u32_e32 v58, v9, v57
	;; [unrolled: 1-line block ×3, first 2 shown]
	s_waitcnt lgkmcnt(0)
	s_barrier
	ds_read2_b32 v[47:48], v43 offset0:127 offset1:161
	ds_read2_b32 v[51:52], v58 offset0:34 offset1:68
	v_add_u32_e32 v43, 0x400, v58
	v_add3_u32 v0, 0, v57, v4
	ds_read2_b32 v[45:46], v43 offset0:67 offset1:101
	ds_read2_b32 v[55:56], v58 offset0:102 offset1:136
	ds_read2_b32 v[43:44], v43 offset0:135 offset1:169
	ds_read2_b32 v[53:54], v58 offset0:170 offset1:204
	ds_read_b32 v60, v0
	ds_read_b32 v59, v58 offset:1836
	v_cmp_gt_u32_e64 s[2:3], 17, v3
	s_and_saveexec_b64 s[6:7], s[2:3]
	s_cbranch_execz .LBB0_14
; %bb.13:
	v_add_u32_e32 v7, 0x3b8, v58
	ds_read2_b32 v[7:8], v7 offset1:255
.LBB0_14:
	s_or_b64 exec, exec, s[6:7]
	v_sub_f32_e32 v74, v11, v41
	v_add_f32_e32 v73, v12, v42
	s_mov_b32 s14, 0x3f3d2fb0
	v_mul_f32_e32 v77, 0xbf2c7751, v74
	v_sub_f32_e32 v71, v13, v39
	v_fma_f32 v11, v73, s14, -v77
	s_mov_b32 s9, 0x3ee437d1
	v_mul_f32_e32 v78, 0xbf65296c, v74
	v_add_f32_e32 v69, v14, v40
	s_mov_b32 s8, 0x3dbcf732
	v_mul_f32_e32 v75, 0xbf7ee86f, v71
	v_sub_f32_e32 v67, v15, v33
	v_add_f32_e32 v11, v10, v11
	v_fma_f32 v41, v73, s9, -v78
	v_fma_f32 v13, v69, s8, -v75
	s_mov_b32 s15, 0xbf1a4643
	v_mul_f32_e32 v76, 0xbf4c4adb, v71
	v_add_f32_e32 v65, v16, v34
	v_mul_f32_e32 v70, 0xbf4c4adb, v67
	v_add_f32_e32 v41, v10, v41
	v_add_f32_e32 v11, v11, v13
	v_fma_f32 v13, v69, s15, -v76
	v_fma_f32 v15, v65, s15, -v70
	s_mov_b32 s17, 0xbf7ba420
	v_mul_f32_e32 v72, 0x3e3c28d5, v67
	v_sub_f32_e32 v63, v17, v37
	v_add_f32_e32 v13, v41, v13
	v_add_f32_e32 v11, v15, v11
	v_fma_f32 v15, v65, s17, -v72
	v_add_f32_e32 v61, v18, v38
	v_mul_f32_e32 v66, 0xbe3c28d5, v63
	v_add_f32_e32 v13, v15, v13
	v_fma_f32 v15, v61, s17, -v66
	s_mov_b32 s16, 0xbe8c1d8e
	v_mul_f32_e32 v68, 0x3f763a35, v63
	v_sub_f32_e32 v39, v19, v29
	v_add_f32_e32 v11, v11, v15
	v_fma_f32 v15, v61, s16, -v68
	v_add_f32_e32 v37, v20, v30
	s_mov_b32 s19, 0xbf59a7d5
	v_mul_f32_e32 v62, 0x3f06c442, v39
	v_add_f32_e32 v13, v13, v15
	v_fma_f32 v15, v37, s19, -v62
	v_mul_f32_e32 v64, 0x3f2c7751, v39
	v_sub_f32_e32 v33, v21, v35
	v_add_f32_e32 v11, v15, v11
	v_fma_f32 v15, v37, s14, -v64
	v_add_f32_e32 v29, v22, v36
	v_mul_f32_e32 v35, 0x3f763a35, v33
	v_add_f32_e32 v13, v15, v13
	v_fma_f32 v15, v29, s16, -v35
	s_mov_b32 s18, 0x3f6eb680
	v_mul_f32_e32 v41, 0xbeb8f4ab, v33
	v_add_f32_e32 v11, v11, v15
	v_fma_f32 v15, v29, s18, -v41
	v_sub_f32_e32 v21, v23, v27
	v_add_f32_e32 v13, v13, v15
	v_add_f32_e32 v15, v24, v28
	v_mul_f32_e32 v23, 0x3f65296c, v21
	v_fma_f32 v17, v15, s9, -v23
	v_mul_f32_e32 v27, 0xbf7ee86f, v21
	v_add_f32_e32 v19, v17, v11
	v_fma_f32 v11, v15, s8, -v27
	v_add_f32_e32 v49, v11, v13
	v_sub_f32_e32 v13, v25, v31
	v_add_f32_e32 v11, v26, v32
	v_mul_f32_e32 v17, 0x3eb8f4ab, v13
	v_fma_f32 v25, v11, s18, -v17
	v_add_f32_e32 v50, v19, v25
	v_mul_f32_e32 v19, 0xbf06c442, v13
	v_fma_f32 v25, v11, s19, -v19
	v_add_f32_e32 v49, v49, v25
	s_waitcnt lgkmcnt(0)
	s_barrier
	s_and_saveexec_b64 s[6:7], s[0:1]
	s_cbranch_execz .LBB0_16
; %bb.15:
	v_add_f32_e32 v12, v10, v12
	v_add_f32_e32 v12, v12, v14
	;; [unrolled: 1-line block ×13, first 2 shown]
	v_mul_f32_e32 v25, 0x3f3d2fb0, v73
	v_mul_f32_e32 v31, 0x3ee437d1, v73
	v_add_f32_e32 v12, v34, v12
	v_mul_f32_e32 v34, 0xbe3c28d5, v74
	v_mul_f32_e32 v14, 0xbeb8f4ab, v74
	v_add_f32_e32 v18, v25, v77
	v_add_f32_e32 v20, v31, v78
	v_mul_f32_e32 v22, 0xbf7ee86f, v74
	v_mul_f32_e32 v25, 0xbf763a35, v74
	;; [unrolled: 1-line block ×4, first 2 shown]
	v_mov_b32_e32 v36, v34
	v_fma_f32 v16, v73, s18, -v14
	v_fmac_f32_e32 v14, 0x3f6eb680, v73
	v_fma_f32 v24, v73, s8, -v22
	v_fmac_f32_e32 v22, 0x3dbcf732, v73
	;; [unrolled: 2-line block ×5, first 2 shown]
	v_fmac_f32_e32 v36, 0xbf7ba420, v73
	v_fma_f32 v34, v73, s17, -v34
	v_add_f32_e32 v14, v10, v14
	v_add_f32_e32 v16, v10, v16
	;; [unrolled: 1-line block ×14, first 2 shown]
	v_mul_f32_e32 v34, 0xbf2c7751, v71
	v_mul_f32_e32 v79, 0x3dbcf732, v69
	v_fma_f32 v38, v69, s14, -v34
	v_fmac_f32_e32 v34, 0x3f3d2fb0, v69
	v_mul_f32_e32 v80, 0xbf1a4643, v69
	v_add_f32_e32 v14, v14, v34
	v_add_f32_e32 v34, v79, v75
	v_add_f32_e32 v18, v18, v34
	v_add_f32_e32 v34, v80, v76
	v_add_f32_e32 v20, v20, v34
	v_mul_f32_e32 v34, 0xbe3c28d5, v71
	v_add_f32_e32 v16, v16, v38
	v_fma_f32 v38, v69, s17, -v34
	v_fmac_f32_e32 v34, 0xbf7ba420, v69
	v_add_f32_e32 v22, v22, v34
	v_mul_f32_e32 v34, 0x3f06c442, v71
	v_add_f32_e32 v24, v24, v38
	v_fma_f32 v38, v69, s19, -v34
	v_fmac_f32_e32 v34, 0xbf59a7d5, v69
	v_add_f32_e32 v25, v25, v34
	v_mul_f32_e32 v34, 0x3f763a35, v71
	v_add_f32_e32 v26, v26, v38
	v_fma_f32 v38, v69, s16, -v34
	v_fmac_f32_e32 v34, 0xbe8c1d8e, v69
	v_add_f32_e32 v28, v28, v34
	v_mul_f32_e32 v34, 0x3f65296c, v71
	v_add_f32_e32 v30, v30, v38
	v_fma_f32 v38, v69, s9, -v34
	v_fmac_f32_e32 v34, 0x3ee437d1, v69
	v_add_f32_e32 v31, v31, v34
	v_mul_f32_e32 v34, 0x3eb8f4ab, v71
	v_add_f32_e32 v32, v32, v38
	v_mov_b32_e32 v38, v34
	v_fma_f32 v34, v69, s18, -v34
	v_fmac_f32_e32 v38, 0x3f6eb680, v69
	v_add_f32_e32 v10, v10, v34
	v_mul_f32_e32 v34, 0xbf65296c, v67
	v_mul_f32_e32 v81, 0xbf1a4643, v65
	v_add_f32_e32 v36, v36, v38
	v_fma_f32 v38, v65, s9, -v34
	v_fmac_f32_e32 v34, 0x3ee437d1, v65
	v_mul_f32_e32 v82, 0xbf7ba420, v65
	v_add_f32_e32 v14, v34, v14
	v_add_f32_e32 v34, v81, v70
	v_add_f32_e32 v18, v34, v18
	v_add_f32_e32 v34, v82, v72
	v_add_f32_e32 v20, v34, v20
	v_mul_f32_e32 v34, 0x3f763a35, v67
	v_add_f32_e32 v16, v38, v16
	v_fma_f32 v38, v65, s16, -v34
	v_fmac_f32_e32 v34, 0xbe8c1d8e, v65
	v_add_f32_e32 v22, v34, v22
	v_mul_f32_e32 v34, 0x3f2c7751, v67
	v_add_f32_e32 v24, v38, v24
	v_fma_f32 v38, v65, s14, -v34
	v_fmac_f32_e32 v34, 0x3f3d2fb0, v65
	v_add_f32_e32 v25, v34, v25
	v_mul_f32_e32 v34, 0xbeb8f4ab, v67
	v_add_f32_e32 v26, v38, v26
	v_fma_f32 v38, v65, s18, -v34
	v_fmac_f32_e32 v34, 0x3f6eb680, v65
	v_add_f32_e32 v28, v34, v28
	v_mul_f32_e32 v34, 0xbf7ee86f, v67
	v_add_f32_e32 v30, v38, v30
	v_fma_f32 v38, v65, s8, -v34
	v_fmac_f32_e32 v34, 0x3dbcf732, v65
	v_add_f32_e32 v31, v34, v31
	v_mul_f32_e32 v34, 0xbf06c442, v67
	v_add_f32_e32 v32, v38, v32
	v_mov_b32_e32 v38, v34
	v_fma_f32 v34, v65, s19, -v34
	v_fmac_f32_e32 v38, 0xbf59a7d5, v65
	v_add_f32_e32 v10, v34, v10
	v_mul_f32_e32 v34, 0xbf7ee86f, v63
	v_mul_f32_e32 v83, 0xbf7ba420, v61
	v_add_f32_e32 v36, v38, v36
	;; [unrolled: 37-line block ×3, first 2 shown]
	v_fma_f32 v38, v37, s16, -v34
	v_fmac_f32_e32 v34, 0xbe8c1d8e, v37
	v_mul_f32_e32 v86, 0x3f3d2fb0, v37
	v_add_f32_e32 v14, v34, v14
	v_add_f32_e32 v34, v85, v62
	;; [unrolled: 1-line block ×5, first 2 shown]
	v_mul_f32_e32 v34, 0xbf65296c, v39
	v_add_f32_e32 v16, v38, v16
	v_fma_f32 v38, v37, s9, -v34
	v_fmac_f32_e32 v34, 0x3ee437d1, v37
	v_add_f32_e32 v22, v34, v22
	v_mul_f32_e32 v34, 0xbe3c28d5, v39
	v_add_f32_e32 v24, v38, v24
	v_fma_f32 v38, v37, s17, -v34
	v_fmac_f32_e32 v34, 0xbf7ba420, v37
	v_add_f32_e32 v25, v34, v25
	;; [unrolled: 5-line block ×4, first 2 shown]
	v_mul_f32_e32 v34, 0xbf4c4adb, v39
	v_add_f32_e32 v32, v38, v32
	v_mov_b32_e32 v38, v34
	v_fma_f32 v34, v37, s15, -v34
	v_add_f32_e32 v10, v34, v10
	v_mul_f32_e32 v34, 0xbf4c4adb, v33
	v_mul_f32_e32 v87, 0xbe8c1d8e, v29
	v_fmac_f32_e32 v38, 0xbf1a4643, v37
	v_fma_f32 v37, v29, s15, -v34
	v_fmac_f32_e32 v34, 0xbf1a4643, v29
	v_mul_f32_e32 v88, 0x3f6eb680, v29
	v_add_f32_e32 v14, v14, v34
	v_add_f32_e32 v34, v87, v35
	;; [unrolled: 1-line block ×5, first 2 shown]
	v_mul_f32_e32 v34, 0xbf06c442, v33
	v_mul_f32_e32 v89, 0x3ee437d1, v15
	v_fma_f32 v35, v29, s19, -v34
	v_fmac_f32_e32 v34, 0xbf59a7d5, v29
	v_mul_f32_e32 v90, 0x3dbcf732, v15
	v_add_f32_e32 v22, v22, v34
	v_mul_f32_e32 v34, 0x3f7ee86f, v33
	v_add_f32_e32 v23, v89, v23
	v_add_f32_e32 v24, v24, v35
	v_fma_f32 v35, v29, s8, -v34
	v_fmac_f32_e32 v34, 0x3dbcf732, v29
	v_add_f32_e32 v18, v23, v18
	v_add_f32_e32 v23, v90, v27
	;; [unrolled: 1-line block ×3, first 2 shown]
	v_mul_f32_e32 v34, 0xbf2c7751, v33
	v_add_f32_e32 v20, v23, v20
	v_mul_f32_e32 v23, 0x3f4c4adb, v21
	v_add_f32_e32 v26, v26, v35
	v_fma_f32 v35, v29, s14, -v34
	v_fmac_f32_e32 v34, 0x3f3d2fb0, v29
	v_fma_f32 v27, v15, s15, -v23
	v_fmac_f32_e32 v23, 0xbf1a4643, v15
	v_add_f32_e32 v28, v28, v34
	v_mul_f32_e32 v34, 0xbe3c28d5, v33
	v_add_f32_e32 v22, v23, v22
	v_add_f32_e32 v23, v27, v24
	v_mul_f32_e32 v24, 0xbeb8f4ab, v21
	v_add_f32_e32 v30, v30, v35
	v_fma_f32 v35, v29, s17, -v34
	v_fmac_f32_e32 v34, 0xbf7ba420, v29
	v_mul_f32_e32 v33, 0x3f65296c, v33
	v_fma_f32 v27, v15, s18, -v24
	v_fmac_f32_e32 v24, 0x3f6eb680, v15
	v_add_f32_e32 v31, v31, v34
	v_mov_b32_e32 v34, v33
	v_add_f32_e32 v24, v24, v25
	v_add_f32_e32 v25, v27, v26
	v_mul_f32_e32 v26, 0xbe3c28d5, v21
	v_fmac_f32_e32 v34, 0x3ee437d1, v29
	v_fma_f32 v29, v29, s9, -v33
	v_fma_f32 v27, v15, s17, -v26
	v_fmac_f32_e32 v26, 0xbf7ba420, v15
	v_add_f32_e32 v10, v10, v29
	v_mul_f32_e32 v29, 0xbf06c442, v21
	v_add_f32_e32 v26, v26, v28
	v_mul_f32_e32 v28, 0x3f2c7751, v21
	v_mul_f32_e32 v21, 0xbf763a35, v21
	v_fma_f32 v33, v15, s19, -v29
	v_fmac_f32_e32 v29, 0xbf59a7d5, v15
	v_add_f32_e32 v27, v27, v30
	v_mov_b32_e32 v30, v21
	v_add_f32_e32 v14, v29, v14
	v_fma_f32 v29, v15, s14, -v28
	v_fmac_f32_e32 v28, 0x3f3d2fb0, v15
	v_fmac_f32_e32 v30, 0xbe8c1d8e, v15
	v_fma_f32 v15, v15, s16, -v21
	v_add_f32_e32 v16, v16, v37
	v_add_f32_e32 v10, v15, v10
	v_mul_f32_e32 v15, 0xbe3c28d5, v13
	v_mul_f32_e32 v91, 0x3f6eb680, v11
	v_add_f32_e32 v16, v33, v16
	v_fma_f32 v21, v11, s17, -v15
	v_fmac_f32_e32 v15, 0xbf7ba420, v11
	v_mul_f32_e32 v92, 0xbf59a7d5, v11
	v_add_f32_e32 v14, v14, v15
	v_add_f32_e32 v15, v16, v21
	;; [unrolled: 1-line block ×5, first 2 shown]
	v_mul_f32_e32 v18, 0x3f2c7751, v13
	v_add_f32_e32 v17, v20, v17
	v_fma_f32 v19, v11, s14, -v18
	v_fmac_f32_e32 v18, 0x3f3d2fb0, v11
	v_mul_f32_e32 v20, 0xbf4c4adb, v13
	v_add_f32_e32 v18, v22, v18
	v_fma_f32 v21, v11, s15, -v20
	v_fmac_f32_e32 v20, 0xbf1a4643, v11
	v_mul_f32_e32 v22, 0x3f65296c, v13
	v_add_f32_e32 v19, v23, v19
	v_add_f32_e32 v20, v24, v20
	v_fma_f32 v23, v11, s9, -v22
	v_fmac_f32_e32 v22, 0x3ee437d1, v11
	v_mul_f32_e32 v24, 0xbf763a35, v13
	v_mul_f32_e32 v13, 0x3f7ee86f, v13
	v_add_f32_e32 v22, v26, v22
	v_mov_b32_e32 v26, v13
	v_add_f32_e32 v36, v38, v36
	v_add_f32_e32 v21, v25, v21
	v_fma_f32 v25, v11, s16, -v24
	v_fmac_f32_e32 v24, 0xbe8c1d8e, v11
	v_fmac_f32_e32 v26, 0x3dbcf732, v11
	v_fma_f32 v11, v11, s8, -v13
	v_add_f32_e32 v12, v40, v12
	v_add_f32_e32 v32, v32, v35
	;; [unrolled: 1-line block ×4, first 2 shown]
	v_lshlrev_b32_e32 v11, 6, v3
	v_add_f32_e32 v12, v42, v12
	v_add_f32_e32 v28, v28, v31
	v_add_f32_e32 v29, v29, v32
	v_add_f32_e32 v30, v30, v34
	v_add3_u32 v9, v9, v11, v57
	v_add_f32_e32 v23, v27, v23
	v_add_f32_e32 v24, v28, v24
	;; [unrolled: 1-line block ×4, first 2 shown]
	ds_write2_b32 v9, v12, v14 offset1:1
	ds_write2_b32 v9, v16, v17 offset0:2 offset1:3
	ds_write2_b32 v9, v18, v20 offset0:4 offset1:5
	;; [unrolled: 1-line block ×7, first 2 shown]
	ds_write_b32 v9, v15 offset:64
.LBB0_16:
	s_or_b64 exec, exec, s[6:7]
	v_add_u32_e32 v9, 0x200, v58
	s_waitcnt lgkmcnt(0)
	s_barrier
	ds_read2_b32 v[19:20], v9 offset0:127 offset1:161
	ds_read2_b32 v[13:14], v58 offset0:34 offset1:68
	v_add_u32_e32 v9, 0x400, v58
	ds_read2_b32 v[17:18], v9 offset0:67 offset1:101
	ds_read2_b32 v[11:12], v58 offset0:102 offset1:136
	;; [unrolled: 1-line block ×4, first 2 shown]
	ds_read_b32 v41, v0
	ds_read_b32 v42, v58 offset:1836
	s_and_saveexec_b64 s[0:1], s[2:3]
	s_cbranch_execz .LBB0_18
; %bb.17:
	v_add_u32_e32 v21, 0x3b8, v58
	ds_read2_b32 v[49:50], v21 offset1:255
.LBB0_18:
	s_or_b64 exec, exec, s[0:1]
	v_subrev_u32_e32 v21, 17, v3
	v_cndmask_b32_e64 v61, v21, v3, s[2:3]
	v_mov_b32_e32 v62, 0
	v_lshlrev_b64 v[21:22], 3, v[61:62]
	v_mov_b32_e32 v23, s13
	v_add_co_u32_e64 v21, s[0:1], s12, v21
	v_addc_co_u32_e64 v22, s[0:1], v23, v22, s[0:1]
	v_add_u32_e32 v38, 34, v3
	s_movk_i32 s0, 0xf1
	v_mul_lo_u16_sdwa v23, v38, s0 dst_sel:DWORD dst_unused:UNUSED_PAD src0_sel:BYTE_0 src1_sel:DWORD
	v_lshrrev_b16_e32 v62, 12, v23
	v_add_u32_e32 v37, 0x44, v3
	v_mul_lo_u16_e32 v23, 17, v62
	v_sub_u16_e32 v63, v38, v23
	v_mul_lo_u16_sdwa v23, v37, s0 dst_sel:DWORD dst_unused:UNUSED_PAD src0_sel:BYTE_0 src1_sel:DWORD
	v_lshrrev_b16_e32 v64, 12, v23
	v_mul_lo_u16_e32 v23, 17, v64
	v_add_u16_e32 v39, 0x66, v3
	v_sub_u16_e32 v65, v37, v23
	v_mul_lo_u16_sdwa v23, v39, s0 dst_sel:DWORD dst_unused:UNUSED_PAD src0_sel:BYTE_0 src1_sel:DWORD
	v_lshrrev_b16_e32 v66, 12, v23
	v_mul_lo_u16_e32 v23, 17, v66
	v_mov_b32_e32 v31, 3
	v_sub_u16_e32 v67, v39, v23
	v_lshlrev_b32_sdwa v32, v31, v63 dst_sel:DWORD dst_unused:UNUSED_PAD src0_sel:DWORD src1_sel:BYTE_0
	v_lshlrev_b32_sdwa v33, v31, v65 dst_sel:DWORD dst_unused:UNUSED_PAD src0_sel:DWORD src1_sel:BYTE_0
	;; [unrolled: 1-line block ×3, first 2 shown]
	global_load_dwordx2 v[29:30], v[21:22], off
	global_load_dwordx2 v[27:28], v32, s[12:13]
	global_load_dwordx2 v[25:26], v33, s[12:13]
	;; [unrolled: 1-line block ×3, first 2 shown]
	v_add_u16_e32 v22, 0xaa, v3
	v_mul_lo_u16_sdwa v32, v22, s0 dst_sel:DWORD dst_unused:UNUSED_PAD src0_sel:BYTE_0 src1_sel:DWORD
	v_lshrrev_b16_e32 v70, 12, v32
	v_add_u16_e32 v40, 0x88, v3
	v_mul_lo_u16_e32 v32, 17, v70
	v_mul_lo_u16_sdwa v21, v40, s0 dst_sel:DWORD dst_unused:UNUSED_PAD src0_sel:BYTE_0 src1_sel:DWORD
	v_sub_u16_e32 v71, v22, v32
	v_add_u16_e32 v32, 0xcc, v3
	v_lshrrev_b16_e32 v68, 12, v21
	v_mul_lo_u16_sdwa v33, v32, s0 dst_sel:DWORD dst_unused:UNUSED_PAD src0_sel:BYTE_0 src1_sel:DWORD
	v_mul_lo_u16_e32 v21, 17, v68
	v_lshrrev_b16_e32 v72, 12, v33
	v_sub_u16_e32 v69, v40, v21
	v_mul_lo_u16_e32 v33, 17, v72
	v_lshlrev_b32_sdwa v21, v31, v69 dst_sel:DWORD dst_unused:UNUSED_PAD src0_sel:DWORD src1_sel:BYTE_0
	v_sub_u16_e32 v73, v32, v33
	v_lshlrev_b32_sdwa v22, v31, v71 dst_sel:DWORD dst_unused:UNUSED_PAD src0_sel:DWORD src1_sel:BYTE_0
	v_lshlrev_b32_sdwa v74, v31, v73 dst_sel:DWORD dst_unused:UNUSED_PAD src0_sel:DWORD src1_sel:BYTE_0
	global_load_dwordx2 v[35:36], v21, s[12:13]
	global_load_dwordx2 v[33:34], v22, s[12:13]
	;; [unrolled: 1-line block ×3, first 2 shown]
	v_add_u32_e32 v21, 0xee, v3
	s_mov_b32 s0, 0xf0f1
	v_mul_u32_u24_sdwa v22, v21, s0 dst_sel:DWORD dst_unused:UNUSED_PAD src0_sel:WORD_0 src1_sel:DWORD
	v_lshrrev_b32_e32 v22, 20, v22
	v_mul_lo_u16_e32 v22, 17, v22
	v_sub_u16_e32 v74, v21, v22
	v_lshlrev_b32_e32 v21, 3, v74
	global_load_dwordx2 v[21:22], v21, s[12:13]
	v_cmp_lt_u32_e64 s[0:1], 16, v3
	s_movk_i32 s6, 0x88
	s_load_dwordx2 s[4:5], s[4:5], 0x0
	s_waitcnt vmcnt(0) lgkmcnt(0)
	s_barrier
	v_mul_f32_e32 v75, v19, v30
	v_mul_f32_e32 v76, v20, v28
	v_fma_f32 v76, v48, v27, -v76
	v_mul_f32_e32 v77, v17, v26
	v_sub_f32_e32 v76, v51, v76
	v_fma_f32 v77, v45, v25, -v77
	v_fma_f32 v82, v51, 2.0, -v76
	v_mov_b32_e32 v51, 0x88
	v_mul_f32_e32 v78, v18, v24
	v_sub_f32_e32 v77, v52, v77
	v_cndmask_b32_e64 v51, 0, v51, s[0:1]
	v_fma_f32 v78, v46, v23, -v78
	v_fma_f32 v83, v52, 2.0, -v77
	v_add_u32_e32 v51, 0, v51
	v_lshlrev_b32_e32 v52, 2, v61
	v_mov_b32_e32 v61, 2
	v_fma_f32 v75, v47, v29, -v75
	v_sub_f32_e32 v78, v55, v78
	v_add3_u32 v51, v51, v52, v57
	v_mad_u32_u24 v52, v62, s6, 0
	v_mul_f32_e32 v79, v15, v36
	v_mul_f32_e32 v80, v16, v34
	v_fma_f32 v80, v44, v33, -v80
	v_sub_f32_e32 v80, v53, v80
	v_fma_f32 v79, v43, v35, -v79
	v_fma_f32 v86, v53, 2.0, -v80
	v_lshlrev_b32_sdwa v53, v61, v63 dst_sel:DWORD dst_unused:UNUSED_PAD src0_sel:DWORD src1_sel:BYTE_0
	v_sub_f32_e32 v75, v60, v75
	v_sub_f32_e32 v79, v56, v79
	v_fma_f32 v84, v55, 2.0, -v78
	v_add3_u32 v52, v52, v53, v57
	v_mad_u32_u24 v53, v64, s6, 0
	v_lshlrev_b32_sdwa v55, v61, v65 dst_sel:DWORD dst_unused:UNUSED_PAD src0_sel:DWORD src1_sel:BYTE_0
	v_fma_f32 v60, v60, 2.0, -v75
	v_fma_f32 v85, v56, 2.0, -v79
	v_add3_u32 v53, v53, v55, v57
	v_mad_u32_u24 v55, v66, s6, 0
	v_lshlrev_b32_sdwa v56, v61, v67 dst_sel:DWORD dst_unused:UNUSED_PAD src0_sel:DWORD src1_sel:BYTE_0
	v_mul_f32_e32 v81, v42, v32
	ds_write2_b32 v51, v60, v75 offset1:17
	v_add3_u32 v55, v55, v56, v57
	v_mad_u32_u24 v56, v68, s6, 0
	v_lshlrev_b32_sdwa v60, v61, v69 dst_sel:DWORD dst_unused:UNUSED_PAD src0_sel:DWORD src1_sel:BYTE_0
	v_fma_f32 v81, v59, v31, -v81
	v_add3_u32 v56, v56, v60, v57
	v_mad_u32_u24 v60, v70, s6, 0
	v_lshlrev_b32_sdwa v62, v61, v71 dst_sel:DWORD dst_unused:UNUSED_PAD src0_sel:DWORD src1_sel:BYTE_0
	v_sub_f32_e32 v81, v54, v81
	v_add3_u32 v60, v60, v62, v57
	v_mad_u32_u24 v62, v72, s6, 0
	v_lshlrev_b32_sdwa v61, v61, v73 dst_sel:DWORD dst_unused:UNUSED_PAD src0_sel:DWORD src1_sel:BYTE_0
	v_fma_f32 v54, v54, 2.0, -v81
	v_add3_u32 v61, v62, v61, v57
	ds_write2_b32 v52, v82, v76 offset1:17
	ds_write2_b32 v53, v83, v77 offset1:17
	;; [unrolled: 1-line block ×6, first 2 shown]
	v_lshlrev_b32_e32 v54, 2, v74
	s_and_saveexec_b64 s[0:1], s[2:3]
	s_cbranch_execz .LBB0_20
; %bb.19:
	v_mul_f32_e32 v63, v50, v22
	v_fma_f32 v63, v8, v21, -v63
	v_add3_u32 v62, 0, v54, v57
	v_sub_f32_e32 v63, v7, v63
	v_fma_f32 v7, v7, 2.0, -v63
	v_add_u32_e32 v62, 0x400, v62
	ds_write2_b32 v62, v7, v63 offset0:220 offset1:237
.LBB0_20:
	s_or_b64 exec, exec, s[0:1]
	v_mul_f32_e32 v7, v47, v30
	v_fmac_f32_e32 v7, v19, v29
	v_mul_f32_e32 v19, v48, v28
	v_fmac_f32_e32 v19, v20, v27
	;; [unrolled: 2-line block ×7, first 2 shown]
	v_sub_f32_e32 v7, v41, v7
	v_fma_f32 v28, v41, 2.0, -v7
	v_sub_f32_e32 v29, v13, v19
	v_sub_f32_e32 v31, v14, v20
	;; [unrolled: 1-line block ×6, first 2 shown]
	v_add_u32_e32 v25, 0x400, v58
	v_add_u32_e32 v26, 0x200, v58
	v_fma_f32 v30, v13, 2.0, -v29
	v_fma_f32 v32, v14, 2.0, -v31
	;; [unrolled: 1-line block ×6, first 2 shown]
	s_waitcnt lgkmcnt(0)
	s_barrier
	ds_read_b32 v27, v0
	ds_read2_b32 v[23:24], v58 offset0:170 offset1:204
	ds_read2_b32 v[13:14], v25 offset0:50 offset1:84
	;; [unrolled: 1-line block ×7, first 2 shown]
	s_waitcnt lgkmcnt(0)
	s_barrier
	ds_write2_b32 v51, v28, v7 offset1:17
	ds_write2_b32 v52, v30, v29 offset1:17
	;; [unrolled: 1-line block ×7, first 2 shown]
	s_and_saveexec_b64 s[0:1], s[2:3]
	s_cbranch_execz .LBB0_22
; %bb.21:
	v_mul_f32_e32 v7, v8, v22
	v_fmac_f32_e32 v7, v50, v21
	v_sub_f32_e32 v7, v49, v7
	v_add3_u32 v21, 0, v54, v57
	v_fma_f32 v8, v49, 2.0, -v7
	v_add_u32_e32 v21, 0x400, v21
	ds_write2_b32 v21, v8, v7 offset0:220 offset1:237
.LBB0_22:
	s_or_b64 exec, exec, s[0:1]
	v_lshlrev_b32_e32 v7, 1, v3
	v_mov_b32_e32 v8, 0
	v_lshlrev_b64 v[21:22], 3, v[7:8]
	v_mov_b32_e32 v7, s13
	v_add_co_u32_e64 v21, s[0:1], s12, v21
	v_addc_co_u32_e64 v22, s[0:1], v7, v22, s[0:1]
	s_movk_i32 s0, 0xf1
	v_mul_lo_u16_sdwa v7, v37, s0 dst_sel:DWORD dst_unused:UNUSED_PAD src0_sel:BYTE_0 src1_sel:DWORD
	v_lshrrev_b16_e32 v7, 13, v7
	v_mul_lo_u16_e32 v7, 34, v7
	s_waitcnt lgkmcnt(0)
	s_barrier
	global_load_dwordx4 v[28:31], v[21:22], off offset:136
	v_sub_u16_e32 v7, v37, v7
	v_mov_b32_e32 v21, 4
	v_lshlrev_b32_sdwa v22, v21, v7 dst_sel:DWORD dst_unused:UNUSED_PAD src0_sel:DWORD src1_sel:BYTE_0
	global_load_dwordx4 v[32:35], v22, s[12:13] offset:136
	v_mul_lo_u16_sdwa v22, v39, s0 dst_sel:DWORD dst_unused:UNUSED_PAD src0_sel:BYTE_0 src1_sel:DWORD
	v_lshrrev_b16_e32 v22, 13, v22
	v_mul_lo_u16_e32 v22, 34, v22
	v_sub_u16_e32 v36, v39, v22
	v_lshlrev_b32_sdwa v22, v21, v36 dst_sel:DWORD dst_unused:UNUSED_PAD src0_sel:DWORD src1_sel:BYTE_0
	global_load_dwordx4 v[41:44], v22, s[12:13] offset:136
	v_mul_lo_u16_sdwa v39, v40, s0 dst_sel:DWORD dst_unused:UNUSED_PAD src0_sel:BYTE_0 src1_sel:DWORD
	v_lshrrev_b16_e32 v39, 13, v39
	v_mul_lo_u16_e32 v22, 34, v39
	v_sub_u16_e32 v61, v40, v22
	v_lshlrev_b32_sdwa v21, v21, v61 dst_sel:DWORD dst_unused:UNUSED_PAD src0_sel:DWORD src1_sel:BYTE_0
	global_load_dwordx4 v[45:48], v21, s[12:13] offset:136
	ds_read_b32 v62, v0
	ds_read2_b32 v[21:22], v58 offset0:170 offset1:204
	ds_read2_b32 v[39:40], v25 offset0:50 offset1:84
	;; [unrolled: 1-line block ×7, first 2 shown]
	s_waitcnt vmcnt(0) lgkmcnt(0)
	s_barrier
	v_mul_f32_e32 v63, v21, v29
	v_mul_f32_e32 v64, v23, v29
	;; [unrolled: 1-line block ×8, first 2 shown]
	v_fmac_f32_e32 v64, v21, v28
	v_fmac_f32_e32 v66, v40, v30
	v_fma_f32 v21, v24, v28, -v67
	v_fmac_f32_e32 v29, v22, v28
	v_mul_f32_e32 v22, v53, v33
	v_mul_f32_e32 v24, v17, v33
	;; [unrolled: 1-line block ×3, first 2 shown]
	v_fma_f32 v23, v23, v28, -v63
	v_fma_f32 v14, v14, v30, -v65
	;; [unrolled: 1-line block ×3, first 2 shown]
	v_fmac_f32_e32 v31, v51, v30
	v_mul_f32_e32 v28, v52, v35
	v_mul_f32_e32 v30, v20, v35
	;; [unrolled: 1-line block ×3, first 2 shown]
	v_fma_f32 v18, v18, v41, -v33
	v_add_f32_e32 v33, v64, v66
	v_add_f32_e32 v63, v27, v23
	;; [unrolled: 1-line block ×3, first 2 shown]
	v_fmac_f32_e32 v62, -0.5, v33
	v_add_f32_e32 v65, v23, v14
	v_fma_f32 v17, v17, v32, -v22
	v_add_f32_e32 v22, v63, v14
	v_sub_f32_e32 v14, v23, v14
	v_mov_b32_e32 v33, v62
	v_add_f32_e32 v23, v21, v19
	v_fmac_f32_e32 v33, 0xbf5db3d7, v14
	v_fmac_f32_e32 v62, 0x3f5db3d7, v14
	v_add_f32_e32 v14, v11, v21
	v_fma_f32 v11, -0.5, v23, v11
	v_fma_f32 v20, v20, v34, -v28
	v_fmac_f32_e32 v30, v52, v34
	v_sub_f32_e32 v23, v29, v31
	v_mov_b32_e32 v34, v11
	v_mul_f32_e32 v40, v59, v44
	v_mul_f32_e32 v42, v15, v44
	;; [unrolled: 1-line block ×4, first 2 shown]
	v_fmac_f32_e32 v34, 0x3f5db3d7, v23
	v_fmac_f32_e32 v11, 0xbf5db3d7, v23
	v_add_f32_e32 v23, v49, v29
	v_fmac_f32_e32 v46, v39, v45
	v_add_f32_e32 v39, v23, v31
	v_add_f32_e32 v23, v29, v31
	v_fma_f32 v29, -0.5, v23, v49
	v_add_f32_e32 v14, v14, v19
	v_sub_f32_e32 v19, v21, v19
	v_mov_b32_e32 v31, v29
	v_add_f32_e32 v21, v17, v20
	v_fmac_f32_e32 v24, v53, v32
	v_fmac_f32_e32 v31, 0xbf5db3d7, v19
	;; [unrolled: 1-line block ×3, first 2 shown]
	v_add_f32_e32 v19, v12, v17
	v_fmac_f32_e32 v12, -0.5, v21
	v_sub_f32_e32 v21, v24, v30
	v_mov_b32_e32 v23, v12
	v_fmac_f32_e32 v23, 0x3f5db3d7, v21
	v_fmac_f32_e32 v12, 0xbf5db3d7, v21
	v_add_f32_e32 v21, v50, v24
	v_fma_f32 v15, v15, v43, -v40
	v_add_f32_e32 v40, v21, v30
	v_add_f32_e32 v21, v24, v30
	v_fmac_f32_e32 v50, -0.5, v21
	v_add_f32_e32 v19, v19, v20
	v_sub_f32_e32 v17, v17, v20
	v_mov_b32_e32 v24, v50
	v_add_f32_e32 v20, v18, v15
	v_fmac_f32_e32 v35, v54, v41
	v_fmac_f32_e32 v42, v59, v43
	v_fmac_f32_e32 v27, -0.5, v65
	v_fmac_f32_e32 v24, 0xbf5db3d7, v17
	v_fmac_f32_e32 v50, 0x3f5db3d7, v17
	v_add_f32_e32 v17, v9, v18
	v_fma_f32 v9, -0.5, v20, v9
	v_sub_f32_e32 v67, v64, v66
	v_mov_b32_e32 v32, v27
	v_sub_f32_e32 v20, v35, v42
	v_mov_b32_e32 v21, v9
	v_fmac_f32_e32 v32, 0x3f5db3d7, v67
	v_fmac_f32_e32 v21, 0x3f5db3d7, v20
	;; [unrolled: 1-line block ×3, first 2 shown]
	v_add_f32_e32 v20, v55, v35
	v_mul_f32_e32 v51, v60, v48
	v_fmac_f32_e32 v27, 0xbf5db3d7, v67
	v_add_f32_e32 v30, v20, v42
	v_add_f32_e32 v20, v35, v42
	ds_write2_b32 v58, v22, v32 offset1:34
	ds_write2_b32 v58, v27, v14 offset0:68 offset1:102
	ds_write2_b32 v58, v34, v11 offset0:136 offset1:170
	v_mov_b32_e32 v11, 2
	v_mul_f32_e32 v48, v16, v48
	v_fma_f32 v13, v13, v45, -v44
	v_fma_f32 v16, v16, v47, -v51
	v_fma_f32 v35, -0.5, v20, v55
	v_lshlrev_b32_sdwa v7, v11, v7 dst_sel:DWORD dst_unused:UNUSED_PAD src0_sel:DWORD src1_sel:BYTE_0
	v_add_f32_e32 v17, v17, v15
	v_sub_f32_e32 v15, v18, v15
	v_mov_b32_e32 v41, v35
	v_add_f32_e32 v18, v13, v16
	v_add3_u32 v7, 0, v7, v57
	v_fmac_f32_e32 v48, v60, v47
	v_fmac_f32_e32 v41, 0xbf5db3d7, v15
	;; [unrolled: 1-line block ×3, first 2 shown]
	v_add_f32_e32 v15, v10, v13
	v_fmac_f32_e32 v10, -0.5, v18
	ds_write2_b32 v7, v19, v23 offset0:204 offset1:238
	ds_write_b32 v7, v12 offset:1088
	v_lshlrev_b32_sdwa v12, v11, v36 dst_sel:DWORD dst_unused:UNUSED_PAD src0_sel:DWORD src1_sel:BYTE_0
	v_sub_f32_e32 v18, v46, v48
	v_mov_b32_e32 v20, v10
	v_add3_u32 v27, 0, v12, v57
	v_fmac_f32_e32 v20, 0x3f5db3d7, v18
	v_fmac_f32_e32 v10, 0xbf5db3d7, v18
	v_add_f32_e32 v18, v56, v46
	v_add_u32_e32 v32, 0x400, v27
	v_add_f32_e32 v42, v18, v48
	v_add_f32_e32 v18, v46, v48
	ds_write2_b32 v32, v17, v21 offset0:50 offset1:84
	ds_write_b32 v27, v9 offset:1496
	v_lshlrev_b32_sdwa v9, v11, v61 dst_sel:DWORD dst_unused:UNUSED_PAD src0_sel:DWORD src1_sel:BYTE_0
	v_fmac_f32_e32 v56, -0.5, v18
	v_add3_u32 v34, 0, v9, v57
	v_add_f32_e32 v15, v15, v16
	v_sub_f32_e32 v13, v13, v16
	v_mov_b32_e32 v43, v56
	v_add_u32_e32 v36, 0x400, v34
	v_fmac_f32_e32 v43, 0xbf5db3d7, v13
	v_fmac_f32_e32 v56, 0x3f5db3d7, v13
	ds_write2_b32 v36, v15, v20 offset0:152 offset1:186
	ds_write_b32 v34, v10 offset:1904
	s_waitcnt lgkmcnt(0)
	s_barrier
	ds_read_b32 v23, v0
	ds_read2_b32 v[11:12], v58 offset0:102 offset1:136
	ds_read2_b32 v[15:16], v58 offset0:170 offset1:204
	;; [unrolled: 1-line block ×7, first 2 shown]
	v_add_f32_e32 v28, v68, v66
	s_waitcnt lgkmcnt(0)
	s_barrier
	ds_write2_b32 v58, v28, v33 offset1:34
	ds_write2_b32 v58, v62, v39 offset0:68 offset1:102
	ds_write2_b32 v58, v31, v29 offset0:136 offset1:170
	;; [unrolled: 1-line block ×3, first 2 shown]
	ds_write_b32 v7, v50 offset:1088
	ds_write2_b32 v32, v30, v41 offset0:50 offset1:84
	ds_write_b32 v27, v35 offset:1496
	ds_write2_b32 v36, v42, v43 offset0:152 offset1:186
	ds_write_b32 v34, v56 offset:1904
	s_waitcnt lgkmcnt(0)
	s_barrier
	s_and_saveexec_b64 s[0:1], vcc
	s_cbranch_execz .LBB0_24
; %bb.23:
	v_lshlrev_b32_e32 v7, 2, v37
	v_lshlrev_b64 v[24:25], 3, v[7:8]
	v_mov_b32_e32 v36, s13
	v_add_co_u32_e32 v32, vcc, s12, v24
	v_addc_co_u32_e32 v33, vcc, v36, v25, vcc
	global_load_dwordx4 v[24:27], v[32:33], off offset:680
	global_load_dwordx4 v[28:31], v[32:33], off offset:696
	v_mul_lo_u32 v32, s5, v5
	v_mad_u64_u32 v[43:44], s[0:1], s4, v5, 0
	v_add_u32_e32 v5, 0x200, v58
	v_lshlrev_b32_e32 v7, 2, v38
	v_mul_lo_u32 v33, s4, v6
	ds_read2_b32 v[45:46], v58 offset0:170 offset1:204
	v_add_u32_e32 v63, 0x400, v58
	ds_read2_b32 v[47:48], v58 offset0:34 offset1:68
	ds_read2_b32 v[49:50], v5 offset0:110 offset1:144
	ds_read2_b32 v[51:52], v63 offset0:186 offset1:220
	ds_read2_b32 v[53:54], v63 offset0:118 offset1:152
	v_lshlrev_b64 v[5:6], 3, v[7:8]
	v_add3_u32 v44, v44, v33, v32
	v_add_co_u32_e32 v5, vcc, s12, v5
	v_addc_co_u32_e32 v6, vcc, v36, v6, vcc
	global_load_dwordx4 v[32:35], v[5:6], off offset:696
	global_load_dwordx4 v[39:42], v[5:6], off offset:680
	s_mov_b32 s0, 0xa0a0a0a1
	s_waitcnt vmcnt(3)
	v_mul_f32_e32 v5, v15, v25
	v_mul_f32_e32 v6, v20, v27
	s_waitcnt vmcnt(2)
	v_mul_f32_e32 v7, v22, v31
	s_waitcnt lgkmcnt(4)
	v_mul_f32_e32 v25, v45, v25
	v_fmac_f32_e32 v5, v45, v24
	s_waitcnt lgkmcnt(2)
	v_fmac_f32_e32 v6, v50, v26
	s_waitcnt lgkmcnt(1)
	v_fmac_f32_e32 v7, v52, v30
	v_mul_f32_e32 v57, v9, v29
	v_mul_f32_e32 v27, v50, v27
	s_waitcnt lgkmcnt(0)
	v_mul_f32_e32 v29, v53, v29
	v_mul_f32_e32 v31, v52, v31
	v_fma_f32 v15, v15, v24, -v25
	v_sub_f32_e32 v24, v5, v6
	v_sub_f32_e32 v50, v5, v7
	;; [unrolled: 1-line block ×3, first 2 shown]
	v_add_f32_e32 v55, v5, v7
	v_add_f32_e32 v5, v5, v48
	v_fmac_f32_e32 v57, v53, v28
	v_fma_f32 v20, v20, v26, -v27
	v_fma_f32 v9, v9, v28, -v29
	;; [unrolled: 1-line block ×3, first 2 shown]
	v_add_f32_e32 v5, v6, v5
	v_add_f32_e32 v28, v6, v57
	v_sub_f32_e32 v30, v15, v20
	v_sub_f32_e32 v31, v22, v9
	v_add_f32_e32 v45, v20, v9
	v_add_f32_e32 v60, v15, v22
	;; [unrolled: 1-line block ×3, first 2 shown]
	v_sub_f32_e32 v25, v7, v57
	v_sub_f32_e32 v53, v57, v7
	v_fma_f32 v29, -0.5, v28, v48
	v_add_f32_e32 v64, v30, v31
	v_fma_f32 v28, -0.5, v45, v18
	v_fma_f32 v30, -0.5, v60, v18
	v_add_f32_e32 v60, v7, v5
	v_mov_b32_e32 v5, v8
	v_sub_f32_e32 v56, v20, v15
	v_sub_f32_e32 v59, v9, v22
	v_add_f32_e32 v24, v24, v25
	v_add_f32_e32 v25, v52, v53
	v_fma_f32 v31, -0.5, v55, v48
	v_mov_b32_e32 v52, v28
	v_lshlrev_b64 v[4:5], 3, v[4:5]
	v_sub_f32_e32 v26, v20, v9
	v_sub_f32_e32 v27, v15, v22
	;; [unrolled: 1-line block ×3, first 2 shown]
	v_add_f32_e32 v15, v18, v15
	v_add_f32_e32 v45, v56, v59
	v_mov_b32_e32 v53, v29
	v_mov_b32_e32 v56, v31
	;; [unrolled: 1-line block ×3, first 2 shown]
	v_fmac_f32_e32 v52, 0xbf737871, v50
	v_fmac_f32_e32 v28, 0x3f737871, v50
	v_add_f32_e32 v6, v15, v20
	v_fmac_f32_e32 v53, 0x3f737871, v27
	v_fmac_f32_e32 v56, 0x3f737871, v26
	;; [unrolled: 1-line block ×8, first 2 shown]
	v_add_co_u32_e32 v61, vcc, s12, v4
	v_add_f32_e32 v6, v6, v9
	v_fmac_f32_e32 v53, 0x3f167918, v26
	v_fmac_f32_e32 v56, 0xbf167918, v27
	;; [unrolled: 1-line block ×4, first 2 shown]
	v_addc_co_u32_e32 v62, vcc, v36, v5, vcc
	v_fmac_f32_e32 v53, 0x3e9e377a, v24
	v_fmac_f32_e32 v56, 0x3e9e377a, v25
	v_add_f32_e32 v59, v22, v6
	v_fmac_f32_e32 v31, 0x3e9e377a, v25
	v_fmac_f32_e32 v29, 0x3e9e377a, v24
	global_load_dwordx4 v[4:7], v[61:62], off offset:696
	global_load_dwordx4 v[24:27], v[61:62], off offset:680
	ds_read2_b32 v[57:58], v58 offset0:102 offset1:136
	ds_read2_b32 v[61:62], v63 offset0:50 offset1:84
	v_fmac_f32_e32 v55, 0x3f167918, v50
	v_fmac_f32_e32 v30, 0xbf167918, v50
	;; [unrolled: 1-line block ×4, first 2 shown]
	s_waitcnt vmcnt(2)
	v_mul_f32_e32 v9, v19, v42
	v_mul_f32_e32 v22, v12, v40
	;; [unrolled: 1-line block ×4, first 2 shown]
	v_fmac_f32_e32 v9, v49, v41
	s_waitcnt lgkmcnt(1)
	v_fmac_f32_e32 v22, v58, v39
	s_waitcnt lgkmcnt(0)
	v_fmac_f32_e32 v36, v62, v32
	v_fmac_f32_e32 v45, v51, v34
	v_sub_f32_e32 v15, v9, v22
	v_sub_f32_e32 v18, v36, v45
	v_add_f32_e32 v20, v15, v18
	v_mul_f32_e32 v15, v58, v40
	v_mul_f32_e32 v18, v49, v42
	v_fma_f32 v12, v12, v39, -v15
	v_mul_f32_e32 v15, v51, v35
	v_fma_f32 v40, v19, v41, -v18
	;; [unrolled: 2-line block ×3, first 2 shown]
	v_fma_f32 v41, v14, v32, -v18
	v_sub_f32_e32 v14, v40, v12
	v_sub_f32_e32 v18, v41, v34
	v_add_f32_e32 v15, v22, v45
	v_add_f32_e32 v21, v14, v18
	;; [unrolled: 1-line block ×3, first 2 shown]
	v_fma_f32 v15, -0.5, v15, v47
	v_fma_f32 v14, -0.5, v14, v17
	v_sub_f32_e32 v42, v40, v41
	v_mov_b32_e32 v19, v15
	v_sub_f32_e32 v48, v9, v36
	v_mov_b32_e32 v18, v14
	v_sub_f32_e32 v39, v12, v34
	v_fmac_f32_e32 v19, 0xbf737871, v42
	v_fmac_f32_e32 v18, 0x3f737871, v48
	v_sub_f32_e32 v49, v22, v45
	v_fmac_f32_e32 v15, 0x3f737871, v42
	v_fmac_f32_e32 v14, 0xbf737871, v48
	;; [unrolled: 1-line block ×10, first 2 shown]
	v_sub_f32_e32 v20, v22, v9
	v_sub_f32_e32 v21, v45, v36
	v_add_f32_e32 v22, v22, v47
	v_add_f32_e32 v50, v20, v21
	;; [unrolled: 1-line block ×4, first 2 shown]
	v_fma_f32 v21, -0.5, v20, v47
	v_add_f32_e32 v9, v36, v9
	v_mov_b32_e32 v33, v21
	v_sub_f32_e32 v20, v12, v40
	v_sub_f32_e32 v32, v34, v41
	v_add_f32_e32 v35, v45, v9
	v_add_f32_e32 v9, v17, v12
	v_fmac_f32_e32 v33, 0xbf737871, v39
	v_add_f32_e32 v51, v20, v32
	v_add_f32_e32 v20, v40, v41
	;; [unrolled: 1-line block ×3, first 2 shown]
	v_fmac_f32_e32 v21, 0x3f737871, v39
	ds_read_b32 v0, v0
	v_add_f32_e32 v9, v9, v41
	v_add_f32_e32 v34, v9, v34
	v_fma_f32 v20, -0.5, v20, v17
	v_fmac_f32_e32 v33, 0xbf167918, v42
	v_mov_b32_e32 v32, v20
	v_fmac_f32_e32 v21, 0x3f167918, v42
	v_fmac_f32_e32 v32, 0x3f737871, v49
	;; [unrolled: 1-line block ×4, first 2 shown]
	s_waitcnt vmcnt(1)
	v_mul_f32_e32 v39, v10, v7
	s_waitcnt vmcnt(0)
	v_mul_f32_e32 v22, v11, v25
	v_mul_f32_e32 v36, v16, v27
	;; [unrolled: 1-line block ×3, first 2 shown]
	v_fmac_f32_e32 v22, v57, v24
	v_fmac_f32_e32 v36, v46, v26
	;; [unrolled: 1-line block ×4, first 2 shown]
	v_mul_f32_e32 v5, v61, v5
	v_sub_f32_e32 v9, v22, v36
	v_sub_f32_e32 v12, v39, v40
	v_fma_f32 v4, v13, v4, -v5
	v_mul_f32_e32 v5, v57, v25
	v_add_f32_e32 v41, v9, v12
	v_fma_f32 v25, v11, v24, -v5
	v_mul_f32_e32 v5, v54, v7
	v_sub_f32_e32 v11, v36, v22
	v_sub_f32_e32 v12, v40, v39
	v_mul_f32_e32 v9, v46, v27
	v_fma_f32 v7, v10, v6, -v5
	v_add_f32_e32 v5, v36, v40
	v_add_f32_e32 v46, v11, v12
	v_add_f32_e32 v11, v22, v39
	v_fma_f32 v26, v16, v26, -v9
	s_waitcnt lgkmcnt(0)
	v_fma_f32 v6, -0.5, v5, v0
	v_fma_f32 v12, -0.5, v11, v0
	v_add_f32_e32 v0, v22, v0
	v_sub_f32_e32 v13, v26, v4
	v_mov_b32_e32 v17, v12
	v_add_f32_e32 v0, v36, v0
	v_sub_f32_e32 v24, v25, v7
	v_mov_b32_e32 v10, v6
	v_fmac_f32_e32 v17, 0xbf737871, v13
	v_fmac_f32_e32 v12, 0x3f737871, v13
	v_add_f32_e32 v0, v40, v0
	v_fmac_f32_e32 v10, 0x3f737871, v24
	v_sub_f32_e32 v5, v25, v26
	v_sub_f32_e32 v9, v7, v4
	v_fmac_f32_e32 v17, 0x3f167918, v24
	v_sub_f32_e32 v11, v26, v25
	v_sub_f32_e32 v16, v4, v7
	v_fmac_f32_e32 v12, 0xbf167918, v24
	v_fmac_f32_e32 v6, 0xbf737871, v24
	v_add_f32_e32 v24, v39, v0
	v_add_f32_e32 v0, v23, v25
	;; [unrolled: 1-line block ×7, first 2 shown]
	v_lshlrev_b64 v[25:26], 3, v[43:44]
	v_add_f32_e32 v0, v0, v4
	v_fma_f32 v5, -0.5, v5, v23
	v_fma_f32 v11, -0.5, v11, v23
	v_add_f32_e32 v23, v7, v0
	v_mov_b32_e32 v0, s11
	v_add_co_u32_e32 v7, vcc, s10, v25
	v_fmac_f32_e32 v10, 0x3f167918, v13
	v_fmac_f32_e32 v6, 0xbf167918, v13
	v_addc_co_u32_e32 v13, vcc, v0, v26, vcc
	v_lshlrev_b64 v[0:1], 3, v[1:2]
	v_mov_b32_e32 v4, v8
	v_add_co_u32_e32 v2, vcc, v7, v0
	v_addc_co_u32_e32 v7, vcc, v13, v1, vcc
	v_lshlrev_b64 v[0:1], 3, v[3:4]
	v_sub_f32_e32 v45, v36, v40
	v_add_co_u32_e32 v0, vcc, v2, v0
	v_mul_hi_u32 v2, v38, s0
	v_addc_co_u32_e32 v1, vcc, v7, v1, vcc
	v_mul_hi_u32 v4, v37, s0
	v_lshrrev_b32_e32 v2, 6, v2
	v_mul_u32_u24_e32 v7, 0x198, v2
	v_lshlrev_b64 v[2:3], 3, v[7:8]
	v_sub_f32_e32 v42, v22, v39
	v_mov_b32_e32 v9, v5
	v_mov_b32_e32 v16, v11
	v_fmac_f32_e32 v11, 0xbf737871, v45
	v_fmac_f32_e32 v9, 0xbf737871, v42
	;; [unrolled: 1-line block ×5, first 2 shown]
	v_add_co_u32_e32 v2, vcc, v0, v2
	v_fmac_f32_e32 v20, 0xbf167918, v48
	v_fmac_f32_e32 v9, 0xbf167918, v45
	;; [unrolled: 1-line block ×6, first 2 shown]
	v_addc_co_u32_e32 v3, vcc, v1, v3, vcc
	v_fmac_f32_e32 v33, 0x3e9e377a, v50
	v_fmac_f32_e32 v32, 0x3e9e377a, v51
	;; [unrolled: 1-line block ×10, first 2 shown]
	global_store_dwordx2 v[0:1], v[23:24], off
	global_store_dwordx2 v[0:1], v[5:6], off offset:816
	global_store_dwordx2 v[0:1], v[11:12], off offset:1632
	global_store_dwordx2 v[0:1], v[16:17], off offset:2448
	global_store_dwordx2 v[0:1], v[9:10], off offset:3264
	global_store_dwordx2 v[2:3], v[34:35], off offset:272
	global_store_dwordx2 v[2:3], v[32:33], off offset:1088
	global_store_dwordx2 v[2:3], v[14:15], off offset:1904
	global_store_dwordx2 v[2:3], v[18:19], off offset:2720
	global_store_dwordx2 v[2:3], v[20:21], off offset:3536
	v_lshrrev_b32_e32 v2, 6, v4
	v_mul_u32_u24_e32 v7, 0x198, v2
	v_lshlrev_b64 v[2:3], 3, v[7:8]
	v_fmac_f32_e32 v52, 0x3e9e377a, v64
	v_add_co_u32_e32 v0, vcc, v0, v2
	v_addc_co_u32_e32 v1, vcc, v1, v3, vcc
	v_fmac_f32_e32 v28, 0x3e9e377a, v64
	global_store_dwordx2 v[0:1], v[59:60], off offset:544
	global_store_dwordx2 v[0:1], v[28:29], off offset:1360
	global_store_dwordx2 v[0:1], v[55:56], off offset:2176
	global_store_dwordx2 v[0:1], v[30:31], off offset:2992
	global_store_dwordx2 v[0:1], v[52:53], off offset:3808
.LBB0_24:
	s_endpgm
	.section	.rodata,"a",@progbits
	.p2align	6, 0x0
	.amdhsa_kernel fft_rtc_fwd_len510_factors_17_2_3_5_wgs_238_tpt_34_halfLds_sp_op_CI_CI_unitstride_sbrr_dirReg
		.amdhsa_group_segment_fixed_size 0
		.amdhsa_private_segment_fixed_size 0
		.amdhsa_kernarg_size 104
		.amdhsa_user_sgpr_count 6
		.amdhsa_user_sgpr_private_segment_buffer 1
		.amdhsa_user_sgpr_dispatch_ptr 0
		.amdhsa_user_sgpr_queue_ptr 0
		.amdhsa_user_sgpr_kernarg_segment_ptr 1
		.amdhsa_user_sgpr_dispatch_id 0
		.amdhsa_user_sgpr_flat_scratch_init 0
		.amdhsa_user_sgpr_private_segment_size 0
		.amdhsa_uses_dynamic_stack 0
		.amdhsa_system_sgpr_private_segment_wavefront_offset 0
		.amdhsa_system_sgpr_workgroup_id_x 1
		.amdhsa_system_sgpr_workgroup_id_y 0
		.amdhsa_system_sgpr_workgroup_id_z 0
		.amdhsa_system_sgpr_workgroup_info 0
		.amdhsa_system_vgpr_workitem_id 0
		.amdhsa_next_free_vgpr 93
		.amdhsa_next_free_sgpr 28
		.amdhsa_reserve_vcc 1
		.amdhsa_reserve_flat_scratch 0
		.amdhsa_float_round_mode_32 0
		.amdhsa_float_round_mode_16_64 0
		.amdhsa_float_denorm_mode_32 3
		.amdhsa_float_denorm_mode_16_64 3
		.amdhsa_dx10_clamp 1
		.amdhsa_ieee_mode 1
		.amdhsa_fp16_overflow 0
		.amdhsa_exception_fp_ieee_invalid_op 0
		.amdhsa_exception_fp_denorm_src 0
		.amdhsa_exception_fp_ieee_div_zero 0
		.amdhsa_exception_fp_ieee_overflow 0
		.amdhsa_exception_fp_ieee_underflow 0
		.amdhsa_exception_fp_ieee_inexact 0
		.amdhsa_exception_int_div_zero 0
	.end_amdhsa_kernel
	.text
.Lfunc_end0:
	.size	fft_rtc_fwd_len510_factors_17_2_3_5_wgs_238_tpt_34_halfLds_sp_op_CI_CI_unitstride_sbrr_dirReg, .Lfunc_end0-fft_rtc_fwd_len510_factors_17_2_3_5_wgs_238_tpt_34_halfLds_sp_op_CI_CI_unitstride_sbrr_dirReg
                                        ; -- End function
	.section	.AMDGPU.csdata,"",@progbits
; Kernel info:
; codeLenInByte = 11072
; NumSgprs: 32
; NumVgprs: 93
; ScratchSize: 0
; MemoryBound: 0
; FloatMode: 240
; IeeeMode: 1
; LDSByteSize: 0 bytes/workgroup (compile time only)
; SGPRBlocks: 3
; VGPRBlocks: 23
; NumSGPRsForWavesPerEU: 32
; NumVGPRsForWavesPerEU: 93
; Occupancy: 2
; WaveLimiterHint : 1
; COMPUTE_PGM_RSRC2:SCRATCH_EN: 0
; COMPUTE_PGM_RSRC2:USER_SGPR: 6
; COMPUTE_PGM_RSRC2:TRAP_HANDLER: 0
; COMPUTE_PGM_RSRC2:TGID_X_EN: 1
; COMPUTE_PGM_RSRC2:TGID_Y_EN: 0
; COMPUTE_PGM_RSRC2:TGID_Z_EN: 0
; COMPUTE_PGM_RSRC2:TIDIG_COMP_CNT: 0
	.type	__hip_cuid_5a7d7263b30a052a,@object ; @__hip_cuid_5a7d7263b30a052a
	.section	.bss,"aw",@nobits
	.globl	__hip_cuid_5a7d7263b30a052a
__hip_cuid_5a7d7263b30a052a:
	.byte	0                               ; 0x0
	.size	__hip_cuid_5a7d7263b30a052a, 1

	.ident	"AMD clang version 19.0.0git (https://github.com/RadeonOpenCompute/llvm-project roc-6.4.0 25133 c7fe45cf4b819c5991fe208aaa96edf142730f1d)"
	.section	".note.GNU-stack","",@progbits
	.addrsig
	.addrsig_sym __hip_cuid_5a7d7263b30a052a
	.amdgpu_metadata
---
amdhsa.kernels:
  - .args:
      - .actual_access:  read_only
        .address_space:  global
        .offset:         0
        .size:           8
        .value_kind:     global_buffer
      - .offset:         8
        .size:           8
        .value_kind:     by_value
      - .actual_access:  read_only
        .address_space:  global
        .offset:         16
        .size:           8
        .value_kind:     global_buffer
      - .actual_access:  read_only
        .address_space:  global
        .offset:         24
        .size:           8
        .value_kind:     global_buffer
      - .actual_access:  read_only
        .address_space:  global
        .offset:         32
        .size:           8
        .value_kind:     global_buffer
      - .offset:         40
        .size:           8
        .value_kind:     by_value
      - .actual_access:  read_only
        .address_space:  global
        .offset:         48
        .size:           8
        .value_kind:     global_buffer
      - .actual_access:  read_only
        .address_space:  global
        .offset:         56
        .size:           8
        .value_kind:     global_buffer
      - .offset:         64
        .size:           4
        .value_kind:     by_value
      - .actual_access:  read_only
        .address_space:  global
        .offset:         72
        .size:           8
        .value_kind:     global_buffer
      - .actual_access:  read_only
        .address_space:  global
        .offset:         80
        .size:           8
        .value_kind:     global_buffer
      - .actual_access:  read_only
        .address_space:  global
        .offset:         88
        .size:           8
        .value_kind:     global_buffer
      - .actual_access:  write_only
        .address_space:  global
        .offset:         96
        .size:           8
        .value_kind:     global_buffer
    .group_segment_fixed_size: 0
    .kernarg_segment_align: 8
    .kernarg_segment_size: 104
    .language:       OpenCL C
    .language_version:
      - 2
      - 0
    .max_flat_workgroup_size: 238
    .name:           fft_rtc_fwd_len510_factors_17_2_3_5_wgs_238_tpt_34_halfLds_sp_op_CI_CI_unitstride_sbrr_dirReg
    .private_segment_fixed_size: 0
    .sgpr_count:     32
    .sgpr_spill_count: 0
    .symbol:         fft_rtc_fwd_len510_factors_17_2_3_5_wgs_238_tpt_34_halfLds_sp_op_CI_CI_unitstride_sbrr_dirReg.kd
    .uniform_work_group_size: 1
    .uses_dynamic_stack: false
    .vgpr_count:     93
    .vgpr_spill_count: 0
    .wavefront_size: 64
amdhsa.target:   amdgcn-amd-amdhsa--gfx906
amdhsa.version:
  - 1
  - 2
...

	.end_amdgpu_metadata
